;; amdgpu-corpus repo=ROCm/rocThrust kind=compiled arch=gfx906 opt=O3
	.amdgcn_target "amdgcn-amd-amdhsa--gfx906"
	.amdhsa_code_object_version 6
	.section	.text._ZN7rocprim17ROCPRIM_400000_NS6detail17trampoline_kernelINS0_14default_configENS1_22reduce_config_selectorIfEEZNS1_11reduce_implILb1ES3_PfS7_fN6thrust23THRUST_200600_302600_NS4plusIfEEEE10hipError_tPvRmT1_T2_T3_mT4_P12ihipStream_tbEUlT_E0_NS1_11comp_targetILNS1_3genE0ELNS1_11target_archE4294967295ELNS1_3gpuE0ELNS1_3repE0EEENS1_30default_config_static_selectorELNS0_4arch9wavefront6targetE1EEEvSF_,"axG",@progbits,_ZN7rocprim17ROCPRIM_400000_NS6detail17trampoline_kernelINS0_14default_configENS1_22reduce_config_selectorIfEEZNS1_11reduce_implILb1ES3_PfS7_fN6thrust23THRUST_200600_302600_NS4plusIfEEEE10hipError_tPvRmT1_T2_T3_mT4_P12ihipStream_tbEUlT_E0_NS1_11comp_targetILNS1_3genE0ELNS1_11target_archE4294967295ELNS1_3gpuE0ELNS1_3repE0EEENS1_30default_config_static_selectorELNS0_4arch9wavefront6targetE1EEEvSF_,comdat
	.protected	_ZN7rocprim17ROCPRIM_400000_NS6detail17trampoline_kernelINS0_14default_configENS1_22reduce_config_selectorIfEEZNS1_11reduce_implILb1ES3_PfS7_fN6thrust23THRUST_200600_302600_NS4plusIfEEEE10hipError_tPvRmT1_T2_T3_mT4_P12ihipStream_tbEUlT_E0_NS1_11comp_targetILNS1_3genE0ELNS1_11target_archE4294967295ELNS1_3gpuE0ELNS1_3repE0EEENS1_30default_config_static_selectorELNS0_4arch9wavefront6targetE1EEEvSF_ ; -- Begin function _ZN7rocprim17ROCPRIM_400000_NS6detail17trampoline_kernelINS0_14default_configENS1_22reduce_config_selectorIfEEZNS1_11reduce_implILb1ES3_PfS7_fN6thrust23THRUST_200600_302600_NS4plusIfEEEE10hipError_tPvRmT1_T2_T3_mT4_P12ihipStream_tbEUlT_E0_NS1_11comp_targetILNS1_3genE0ELNS1_11target_archE4294967295ELNS1_3gpuE0ELNS1_3repE0EEENS1_30default_config_static_selectorELNS0_4arch9wavefront6targetE1EEEvSF_
	.globl	_ZN7rocprim17ROCPRIM_400000_NS6detail17trampoline_kernelINS0_14default_configENS1_22reduce_config_selectorIfEEZNS1_11reduce_implILb1ES3_PfS7_fN6thrust23THRUST_200600_302600_NS4plusIfEEEE10hipError_tPvRmT1_T2_T3_mT4_P12ihipStream_tbEUlT_E0_NS1_11comp_targetILNS1_3genE0ELNS1_11target_archE4294967295ELNS1_3gpuE0ELNS1_3repE0EEENS1_30default_config_static_selectorELNS0_4arch9wavefront6targetE1EEEvSF_
	.p2align	8
	.type	_ZN7rocprim17ROCPRIM_400000_NS6detail17trampoline_kernelINS0_14default_configENS1_22reduce_config_selectorIfEEZNS1_11reduce_implILb1ES3_PfS7_fN6thrust23THRUST_200600_302600_NS4plusIfEEEE10hipError_tPvRmT1_T2_T3_mT4_P12ihipStream_tbEUlT_E0_NS1_11comp_targetILNS1_3genE0ELNS1_11target_archE4294967295ELNS1_3gpuE0ELNS1_3repE0EEENS1_30default_config_static_selectorELNS0_4arch9wavefront6targetE1EEEvSF_,@function
_ZN7rocprim17ROCPRIM_400000_NS6detail17trampoline_kernelINS0_14default_configENS1_22reduce_config_selectorIfEEZNS1_11reduce_implILb1ES3_PfS7_fN6thrust23THRUST_200600_302600_NS4plusIfEEEE10hipError_tPvRmT1_T2_T3_mT4_P12ihipStream_tbEUlT_E0_NS1_11comp_targetILNS1_3genE0ELNS1_11target_archE4294967295ELNS1_3gpuE0ELNS1_3repE0EEENS1_30default_config_static_selectorELNS0_4arch9wavefront6targetE1EEEvSF_: ; @_ZN7rocprim17ROCPRIM_400000_NS6detail17trampoline_kernelINS0_14default_configENS1_22reduce_config_selectorIfEEZNS1_11reduce_implILb1ES3_PfS7_fN6thrust23THRUST_200600_302600_NS4plusIfEEEE10hipError_tPvRmT1_T2_T3_mT4_P12ihipStream_tbEUlT_E0_NS1_11comp_targetILNS1_3genE0ELNS1_11target_archE4294967295ELNS1_3gpuE0ELNS1_3repE0EEENS1_30default_config_static_selectorELNS0_4arch9wavefront6targetE1EEEvSF_
; %bb.0:
	.section	.rodata,"a",@progbits
	.p2align	6, 0x0
	.amdhsa_kernel _ZN7rocprim17ROCPRIM_400000_NS6detail17trampoline_kernelINS0_14default_configENS1_22reduce_config_selectorIfEEZNS1_11reduce_implILb1ES3_PfS7_fN6thrust23THRUST_200600_302600_NS4plusIfEEEE10hipError_tPvRmT1_T2_T3_mT4_P12ihipStream_tbEUlT_E0_NS1_11comp_targetILNS1_3genE0ELNS1_11target_archE4294967295ELNS1_3gpuE0ELNS1_3repE0EEENS1_30default_config_static_selectorELNS0_4arch9wavefront6targetE1EEEvSF_
		.amdhsa_group_segment_fixed_size 0
		.amdhsa_private_segment_fixed_size 0
		.amdhsa_kernarg_size 56
		.amdhsa_user_sgpr_count 6
		.amdhsa_user_sgpr_private_segment_buffer 1
		.amdhsa_user_sgpr_dispatch_ptr 0
		.amdhsa_user_sgpr_queue_ptr 0
		.amdhsa_user_sgpr_kernarg_segment_ptr 1
		.amdhsa_user_sgpr_dispatch_id 0
		.amdhsa_user_sgpr_flat_scratch_init 0
		.amdhsa_user_sgpr_private_segment_size 0
		.amdhsa_uses_dynamic_stack 0
		.amdhsa_system_sgpr_private_segment_wavefront_offset 0
		.amdhsa_system_sgpr_workgroup_id_x 1
		.amdhsa_system_sgpr_workgroup_id_y 0
		.amdhsa_system_sgpr_workgroup_id_z 0
		.amdhsa_system_sgpr_workgroup_info 0
		.amdhsa_system_vgpr_workitem_id 0
		.amdhsa_next_free_vgpr 1
		.amdhsa_next_free_sgpr 0
		.amdhsa_reserve_vcc 0
		.amdhsa_reserve_flat_scratch 0
		.amdhsa_float_round_mode_32 0
		.amdhsa_float_round_mode_16_64 0
		.amdhsa_float_denorm_mode_32 3
		.amdhsa_float_denorm_mode_16_64 3
		.amdhsa_dx10_clamp 1
		.amdhsa_ieee_mode 1
		.amdhsa_fp16_overflow 0
		.amdhsa_exception_fp_ieee_invalid_op 0
		.amdhsa_exception_fp_denorm_src 0
		.amdhsa_exception_fp_ieee_div_zero 0
		.amdhsa_exception_fp_ieee_overflow 0
		.amdhsa_exception_fp_ieee_underflow 0
		.amdhsa_exception_fp_ieee_inexact 0
		.amdhsa_exception_int_div_zero 0
	.end_amdhsa_kernel
	.section	.text._ZN7rocprim17ROCPRIM_400000_NS6detail17trampoline_kernelINS0_14default_configENS1_22reduce_config_selectorIfEEZNS1_11reduce_implILb1ES3_PfS7_fN6thrust23THRUST_200600_302600_NS4plusIfEEEE10hipError_tPvRmT1_T2_T3_mT4_P12ihipStream_tbEUlT_E0_NS1_11comp_targetILNS1_3genE0ELNS1_11target_archE4294967295ELNS1_3gpuE0ELNS1_3repE0EEENS1_30default_config_static_selectorELNS0_4arch9wavefront6targetE1EEEvSF_,"axG",@progbits,_ZN7rocprim17ROCPRIM_400000_NS6detail17trampoline_kernelINS0_14default_configENS1_22reduce_config_selectorIfEEZNS1_11reduce_implILb1ES3_PfS7_fN6thrust23THRUST_200600_302600_NS4plusIfEEEE10hipError_tPvRmT1_T2_T3_mT4_P12ihipStream_tbEUlT_E0_NS1_11comp_targetILNS1_3genE0ELNS1_11target_archE4294967295ELNS1_3gpuE0ELNS1_3repE0EEENS1_30default_config_static_selectorELNS0_4arch9wavefront6targetE1EEEvSF_,comdat
.Lfunc_end0:
	.size	_ZN7rocprim17ROCPRIM_400000_NS6detail17trampoline_kernelINS0_14default_configENS1_22reduce_config_selectorIfEEZNS1_11reduce_implILb1ES3_PfS7_fN6thrust23THRUST_200600_302600_NS4plusIfEEEE10hipError_tPvRmT1_T2_T3_mT4_P12ihipStream_tbEUlT_E0_NS1_11comp_targetILNS1_3genE0ELNS1_11target_archE4294967295ELNS1_3gpuE0ELNS1_3repE0EEENS1_30default_config_static_selectorELNS0_4arch9wavefront6targetE1EEEvSF_, .Lfunc_end0-_ZN7rocprim17ROCPRIM_400000_NS6detail17trampoline_kernelINS0_14default_configENS1_22reduce_config_selectorIfEEZNS1_11reduce_implILb1ES3_PfS7_fN6thrust23THRUST_200600_302600_NS4plusIfEEEE10hipError_tPvRmT1_T2_T3_mT4_P12ihipStream_tbEUlT_E0_NS1_11comp_targetILNS1_3genE0ELNS1_11target_archE4294967295ELNS1_3gpuE0ELNS1_3repE0EEENS1_30default_config_static_selectorELNS0_4arch9wavefront6targetE1EEEvSF_
                                        ; -- End function
	.set _ZN7rocprim17ROCPRIM_400000_NS6detail17trampoline_kernelINS0_14default_configENS1_22reduce_config_selectorIfEEZNS1_11reduce_implILb1ES3_PfS7_fN6thrust23THRUST_200600_302600_NS4plusIfEEEE10hipError_tPvRmT1_T2_T3_mT4_P12ihipStream_tbEUlT_E0_NS1_11comp_targetILNS1_3genE0ELNS1_11target_archE4294967295ELNS1_3gpuE0ELNS1_3repE0EEENS1_30default_config_static_selectorELNS0_4arch9wavefront6targetE1EEEvSF_.num_vgpr, 0
	.set _ZN7rocprim17ROCPRIM_400000_NS6detail17trampoline_kernelINS0_14default_configENS1_22reduce_config_selectorIfEEZNS1_11reduce_implILb1ES3_PfS7_fN6thrust23THRUST_200600_302600_NS4plusIfEEEE10hipError_tPvRmT1_T2_T3_mT4_P12ihipStream_tbEUlT_E0_NS1_11comp_targetILNS1_3genE0ELNS1_11target_archE4294967295ELNS1_3gpuE0ELNS1_3repE0EEENS1_30default_config_static_selectorELNS0_4arch9wavefront6targetE1EEEvSF_.num_agpr, 0
	.set _ZN7rocprim17ROCPRIM_400000_NS6detail17trampoline_kernelINS0_14default_configENS1_22reduce_config_selectorIfEEZNS1_11reduce_implILb1ES3_PfS7_fN6thrust23THRUST_200600_302600_NS4plusIfEEEE10hipError_tPvRmT1_T2_T3_mT4_P12ihipStream_tbEUlT_E0_NS1_11comp_targetILNS1_3genE0ELNS1_11target_archE4294967295ELNS1_3gpuE0ELNS1_3repE0EEENS1_30default_config_static_selectorELNS0_4arch9wavefront6targetE1EEEvSF_.numbered_sgpr, 0
	.set _ZN7rocprim17ROCPRIM_400000_NS6detail17trampoline_kernelINS0_14default_configENS1_22reduce_config_selectorIfEEZNS1_11reduce_implILb1ES3_PfS7_fN6thrust23THRUST_200600_302600_NS4plusIfEEEE10hipError_tPvRmT1_T2_T3_mT4_P12ihipStream_tbEUlT_E0_NS1_11comp_targetILNS1_3genE0ELNS1_11target_archE4294967295ELNS1_3gpuE0ELNS1_3repE0EEENS1_30default_config_static_selectorELNS0_4arch9wavefront6targetE1EEEvSF_.num_named_barrier, 0
	.set _ZN7rocprim17ROCPRIM_400000_NS6detail17trampoline_kernelINS0_14default_configENS1_22reduce_config_selectorIfEEZNS1_11reduce_implILb1ES3_PfS7_fN6thrust23THRUST_200600_302600_NS4plusIfEEEE10hipError_tPvRmT1_T2_T3_mT4_P12ihipStream_tbEUlT_E0_NS1_11comp_targetILNS1_3genE0ELNS1_11target_archE4294967295ELNS1_3gpuE0ELNS1_3repE0EEENS1_30default_config_static_selectorELNS0_4arch9wavefront6targetE1EEEvSF_.private_seg_size, 0
	.set _ZN7rocprim17ROCPRIM_400000_NS6detail17trampoline_kernelINS0_14default_configENS1_22reduce_config_selectorIfEEZNS1_11reduce_implILb1ES3_PfS7_fN6thrust23THRUST_200600_302600_NS4plusIfEEEE10hipError_tPvRmT1_T2_T3_mT4_P12ihipStream_tbEUlT_E0_NS1_11comp_targetILNS1_3genE0ELNS1_11target_archE4294967295ELNS1_3gpuE0ELNS1_3repE0EEENS1_30default_config_static_selectorELNS0_4arch9wavefront6targetE1EEEvSF_.uses_vcc, 0
	.set _ZN7rocprim17ROCPRIM_400000_NS6detail17trampoline_kernelINS0_14default_configENS1_22reduce_config_selectorIfEEZNS1_11reduce_implILb1ES3_PfS7_fN6thrust23THRUST_200600_302600_NS4plusIfEEEE10hipError_tPvRmT1_T2_T3_mT4_P12ihipStream_tbEUlT_E0_NS1_11comp_targetILNS1_3genE0ELNS1_11target_archE4294967295ELNS1_3gpuE0ELNS1_3repE0EEENS1_30default_config_static_selectorELNS0_4arch9wavefront6targetE1EEEvSF_.uses_flat_scratch, 0
	.set _ZN7rocprim17ROCPRIM_400000_NS6detail17trampoline_kernelINS0_14default_configENS1_22reduce_config_selectorIfEEZNS1_11reduce_implILb1ES3_PfS7_fN6thrust23THRUST_200600_302600_NS4plusIfEEEE10hipError_tPvRmT1_T2_T3_mT4_P12ihipStream_tbEUlT_E0_NS1_11comp_targetILNS1_3genE0ELNS1_11target_archE4294967295ELNS1_3gpuE0ELNS1_3repE0EEENS1_30default_config_static_selectorELNS0_4arch9wavefront6targetE1EEEvSF_.has_dyn_sized_stack, 0
	.set _ZN7rocprim17ROCPRIM_400000_NS6detail17trampoline_kernelINS0_14default_configENS1_22reduce_config_selectorIfEEZNS1_11reduce_implILb1ES3_PfS7_fN6thrust23THRUST_200600_302600_NS4plusIfEEEE10hipError_tPvRmT1_T2_T3_mT4_P12ihipStream_tbEUlT_E0_NS1_11comp_targetILNS1_3genE0ELNS1_11target_archE4294967295ELNS1_3gpuE0ELNS1_3repE0EEENS1_30default_config_static_selectorELNS0_4arch9wavefront6targetE1EEEvSF_.has_recursion, 0
	.set _ZN7rocprim17ROCPRIM_400000_NS6detail17trampoline_kernelINS0_14default_configENS1_22reduce_config_selectorIfEEZNS1_11reduce_implILb1ES3_PfS7_fN6thrust23THRUST_200600_302600_NS4plusIfEEEE10hipError_tPvRmT1_T2_T3_mT4_P12ihipStream_tbEUlT_E0_NS1_11comp_targetILNS1_3genE0ELNS1_11target_archE4294967295ELNS1_3gpuE0ELNS1_3repE0EEENS1_30default_config_static_selectorELNS0_4arch9wavefront6targetE1EEEvSF_.has_indirect_call, 0
	.section	.AMDGPU.csdata,"",@progbits
; Kernel info:
; codeLenInByte = 0
; TotalNumSgprs: 4
; NumVgprs: 0
; ScratchSize: 0
; MemoryBound: 0
; FloatMode: 240
; IeeeMode: 1
; LDSByteSize: 0 bytes/workgroup (compile time only)
; SGPRBlocks: 0
; VGPRBlocks: 0
; NumSGPRsForWavesPerEU: 4
; NumVGPRsForWavesPerEU: 1
; Occupancy: 10
; WaveLimiterHint : 0
; COMPUTE_PGM_RSRC2:SCRATCH_EN: 0
; COMPUTE_PGM_RSRC2:USER_SGPR: 6
; COMPUTE_PGM_RSRC2:TRAP_HANDLER: 0
; COMPUTE_PGM_RSRC2:TGID_X_EN: 1
; COMPUTE_PGM_RSRC2:TGID_Y_EN: 0
; COMPUTE_PGM_RSRC2:TGID_Z_EN: 0
; COMPUTE_PGM_RSRC2:TIDIG_COMP_CNT: 0
	.section	.text._ZN7rocprim17ROCPRIM_400000_NS6detail17trampoline_kernelINS0_14default_configENS1_22reduce_config_selectorIfEEZNS1_11reduce_implILb1ES3_PfS7_fN6thrust23THRUST_200600_302600_NS4plusIfEEEE10hipError_tPvRmT1_T2_T3_mT4_P12ihipStream_tbEUlT_E0_NS1_11comp_targetILNS1_3genE5ELNS1_11target_archE942ELNS1_3gpuE9ELNS1_3repE0EEENS1_30default_config_static_selectorELNS0_4arch9wavefront6targetE1EEEvSF_,"axG",@progbits,_ZN7rocprim17ROCPRIM_400000_NS6detail17trampoline_kernelINS0_14default_configENS1_22reduce_config_selectorIfEEZNS1_11reduce_implILb1ES3_PfS7_fN6thrust23THRUST_200600_302600_NS4plusIfEEEE10hipError_tPvRmT1_T2_T3_mT4_P12ihipStream_tbEUlT_E0_NS1_11comp_targetILNS1_3genE5ELNS1_11target_archE942ELNS1_3gpuE9ELNS1_3repE0EEENS1_30default_config_static_selectorELNS0_4arch9wavefront6targetE1EEEvSF_,comdat
	.protected	_ZN7rocprim17ROCPRIM_400000_NS6detail17trampoline_kernelINS0_14default_configENS1_22reduce_config_selectorIfEEZNS1_11reduce_implILb1ES3_PfS7_fN6thrust23THRUST_200600_302600_NS4plusIfEEEE10hipError_tPvRmT1_T2_T3_mT4_P12ihipStream_tbEUlT_E0_NS1_11comp_targetILNS1_3genE5ELNS1_11target_archE942ELNS1_3gpuE9ELNS1_3repE0EEENS1_30default_config_static_selectorELNS0_4arch9wavefront6targetE1EEEvSF_ ; -- Begin function _ZN7rocprim17ROCPRIM_400000_NS6detail17trampoline_kernelINS0_14default_configENS1_22reduce_config_selectorIfEEZNS1_11reduce_implILb1ES3_PfS7_fN6thrust23THRUST_200600_302600_NS4plusIfEEEE10hipError_tPvRmT1_T2_T3_mT4_P12ihipStream_tbEUlT_E0_NS1_11comp_targetILNS1_3genE5ELNS1_11target_archE942ELNS1_3gpuE9ELNS1_3repE0EEENS1_30default_config_static_selectorELNS0_4arch9wavefront6targetE1EEEvSF_
	.globl	_ZN7rocprim17ROCPRIM_400000_NS6detail17trampoline_kernelINS0_14default_configENS1_22reduce_config_selectorIfEEZNS1_11reduce_implILb1ES3_PfS7_fN6thrust23THRUST_200600_302600_NS4plusIfEEEE10hipError_tPvRmT1_T2_T3_mT4_P12ihipStream_tbEUlT_E0_NS1_11comp_targetILNS1_3genE5ELNS1_11target_archE942ELNS1_3gpuE9ELNS1_3repE0EEENS1_30default_config_static_selectorELNS0_4arch9wavefront6targetE1EEEvSF_
	.p2align	8
	.type	_ZN7rocprim17ROCPRIM_400000_NS6detail17trampoline_kernelINS0_14default_configENS1_22reduce_config_selectorIfEEZNS1_11reduce_implILb1ES3_PfS7_fN6thrust23THRUST_200600_302600_NS4plusIfEEEE10hipError_tPvRmT1_T2_T3_mT4_P12ihipStream_tbEUlT_E0_NS1_11comp_targetILNS1_3genE5ELNS1_11target_archE942ELNS1_3gpuE9ELNS1_3repE0EEENS1_30default_config_static_selectorELNS0_4arch9wavefront6targetE1EEEvSF_,@function
_ZN7rocprim17ROCPRIM_400000_NS6detail17trampoline_kernelINS0_14default_configENS1_22reduce_config_selectorIfEEZNS1_11reduce_implILb1ES3_PfS7_fN6thrust23THRUST_200600_302600_NS4plusIfEEEE10hipError_tPvRmT1_T2_T3_mT4_P12ihipStream_tbEUlT_E0_NS1_11comp_targetILNS1_3genE5ELNS1_11target_archE942ELNS1_3gpuE9ELNS1_3repE0EEENS1_30default_config_static_selectorELNS0_4arch9wavefront6targetE1EEEvSF_: ; @_ZN7rocprim17ROCPRIM_400000_NS6detail17trampoline_kernelINS0_14default_configENS1_22reduce_config_selectorIfEEZNS1_11reduce_implILb1ES3_PfS7_fN6thrust23THRUST_200600_302600_NS4plusIfEEEE10hipError_tPvRmT1_T2_T3_mT4_P12ihipStream_tbEUlT_E0_NS1_11comp_targetILNS1_3genE5ELNS1_11target_archE942ELNS1_3gpuE9ELNS1_3repE0EEENS1_30default_config_static_selectorELNS0_4arch9wavefront6targetE1EEEvSF_
; %bb.0:
	.section	.rodata,"a",@progbits
	.p2align	6, 0x0
	.amdhsa_kernel _ZN7rocprim17ROCPRIM_400000_NS6detail17trampoline_kernelINS0_14default_configENS1_22reduce_config_selectorIfEEZNS1_11reduce_implILb1ES3_PfS7_fN6thrust23THRUST_200600_302600_NS4plusIfEEEE10hipError_tPvRmT1_T2_T3_mT4_P12ihipStream_tbEUlT_E0_NS1_11comp_targetILNS1_3genE5ELNS1_11target_archE942ELNS1_3gpuE9ELNS1_3repE0EEENS1_30default_config_static_selectorELNS0_4arch9wavefront6targetE1EEEvSF_
		.amdhsa_group_segment_fixed_size 0
		.amdhsa_private_segment_fixed_size 0
		.amdhsa_kernarg_size 56
		.amdhsa_user_sgpr_count 6
		.amdhsa_user_sgpr_private_segment_buffer 1
		.amdhsa_user_sgpr_dispatch_ptr 0
		.amdhsa_user_sgpr_queue_ptr 0
		.amdhsa_user_sgpr_kernarg_segment_ptr 1
		.amdhsa_user_sgpr_dispatch_id 0
		.amdhsa_user_sgpr_flat_scratch_init 0
		.amdhsa_user_sgpr_private_segment_size 0
		.amdhsa_uses_dynamic_stack 0
		.amdhsa_system_sgpr_private_segment_wavefront_offset 0
		.amdhsa_system_sgpr_workgroup_id_x 1
		.amdhsa_system_sgpr_workgroup_id_y 0
		.amdhsa_system_sgpr_workgroup_id_z 0
		.amdhsa_system_sgpr_workgroup_info 0
		.amdhsa_system_vgpr_workitem_id 0
		.amdhsa_next_free_vgpr 1
		.amdhsa_next_free_sgpr 0
		.amdhsa_reserve_vcc 0
		.amdhsa_reserve_flat_scratch 0
		.amdhsa_float_round_mode_32 0
		.amdhsa_float_round_mode_16_64 0
		.amdhsa_float_denorm_mode_32 3
		.amdhsa_float_denorm_mode_16_64 3
		.amdhsa_dx10_clamp 1
		.amdhsa_ieee_mode 1
		.amdhsa_fp16_overflow 0
		.amdhsa_exception_fp_ieee_invalid_op 0
		.amdhsa_exception_fp_denorm_src 0
		.amdhsa_exception_fp_ieee_div_zero 0
		.amdhsa_exception_fp_ieee_overflow 0
		.amdhsa_exception_fp_ieee_underflow 0
		.amdhsa_exception_fp_ieee_inexact 0
		.amdhsa_exception_int_div_zero 0
	.end_amdhsa_kernel
	.section	.text._ZN7rocprim17ROCPRIM_400000_NS6detail17trampoline_kernelINS0_14default_configENS1_22reduce_config_selectorIfEEZNS1_11reduce_implILb1ES3_PfS7_fN6thrust23THRUST_200600_302600_NS4plusIfEEEE10hipError_tPvRmT1_T2_T3_mT4_P12ihipStream_tbEUlT_E0_NS1_11comp_targetILNS1_3genE5ELNS1_11target_archE942ELNS1_3gpuE9ELNS1_3repE0EEENS1_30default_config_static_selectorELNS0_4arch9wavefront6targetE1EEEvSF_,"axG",@progbits,_ZN7rocprim17ROCPRIM_400000_NS6detail17trampoline_kernelINS0_14default_configENS1_22reduce_config_selectorIfEEZNS1_11reduce_implILb1ES3_PfS7_fN6thrust23THRUST_200600_302600_NS4plusIfEEEE10hipError_tPvRmT1_T2_T3_mT4_P12ihipStream_tbEUlT_E0_NS1_11comp_targetILNS1_3genE5ELNS1_11target_archE942ELNS1_3gpuE9ELNS1_3repE0EEENS1_30default_config_static_selectorELNS0_4arch9wavefront6targetE1EEEvSF_,comdat
.Lfunc_end1:
	.size	_ZN7rocprim17ROCPRIM_400000_NS6detail17trampoline_kernelINS0_14default_configENS1_22reduce_config_selectorIfEEZNS1_11reduce_implILb1ES3_PfS7_fN6thrust23THRUST_200600_302600_NS4plusIfEEEE10hipError_tPvRmT1_T2_T3_mT4_P12ihipStream_tbEUlT_E0_NS1_11comp_targetILNS1_3genE5ELNS1_11target_archE942ELNS1_3gpuE9ELNS1_3repE0EEENS1_30default_config_static_selectorELNS0_4arch9wavefront6targetE1EEEvSF_, .Lfunc_end1-_ZN7rocprim17ROCPRIM_400000_NS6detail17trampoline_kernelINS0_14default_configENS1_22reduce_config_selectorIfEEZNS1_11reduce_implILb1ES3_PfS7_fN6thrust23THRUST_200600_302600_NS4plusIfEEEE10hipError_tPvRmT1_T2_T3_mT4_P12ihipStream_tbEUlT_E0_NS1_11comp_targetILNS1_3genE5ELNS1_11target_archE942ELNS1_3gpuE9ELNS1_3repE0EEENS1_30default_config_static_selectorELNS0_4arch9wavefront6targetE1EEEvSF_
                                        ; -- End function
	.set _ZN7rocprim17ROCPRIM_400000_NS6detail17trampoline_kernelINS0_14default_configENS1_22reduce_config_selectorIfEEZNS1_11reduce_implILb1ES3_PfS7_fN6thrust23THRUST_200600_302600_NS4plusIfEEEE10hipError_tPvRmT1_T2_T3_mT4_P12ihipStream_tbEUlT_E0_NS1_11comp_targetILNS1_3genE5ELNS1_11target_archE942ELNS1_3gpuE9ELNS1_3repE0EEENS1_30default_config_static_selectorELNS0_4arch9wavefront6targetE1EEEvSF_.num_vgpr, 0
	.set _ZN7rocprim17ROCPRIM_400000_NS6detail17trampoline_kernelINS0_14default_configENS1_22reduce_config_selectorIfEEZNS1_11reduce_implILb1ES3_PfS7_fN6thrust23THRUST_200600_302600_NS4plusIfEEEE10hipError_tPvRmT1_T2_T3_mT4_P12ihipStream_tbEUlT_E0_NS1_11comp_targetILNS1_3genE5ELNS1_11target_archE942ELNS1_3gpuE9ELNS1_3repE0EEENS1_30default_config_static_selectorELNS0_4arch9wavefront6targetE1EEEvSF_.num_agpr, 0
	.set _ZN7rocprim17ROCPRIM_400000_NS6detail17trampoline_kernelINS0_14default_configENS1_22reduce_config_selectorIfEEZNS1_11reduce_implILb1ES3_PfS7_fN6thrust23THRUST_200600_302600_NS4plusIfEEEE10hipError_tPvRmT1_T2_T3_mT4_P12ihipStream_tbEUlT_E0_NS1_11comp_targetILNS1_3genE5ELNS1_11target_archE942ELNS1_3gpuE9ELNS1_3repE0EEENS1_30default_config_static_selectorELNS0_4arch9wavefront6targetE1EEEvSF_.numbered_sgpr, 0
	.set _ZN7rocprim17ROCPRIM_400000_NS6detail17trampoline_kernelINS0_14default_configENS1_22reduce_config_selectorIfEEZNS1_11reduce_implILb1ES3_PfS7_fN6thrust23THRUST_200600_302600_NS4plusIfEEEE10hipError_tPvRmT1_T2_T3_mT4_P12ihipStream_tbEUlT_E0_NS1_11comp_targetILNS1_3genE5ELNS1_11target_archE942ELNS1_3gpuE9ELNS1_3repE0EEENS1_30default_config_static_selectorELNS0_4arch9wavefront6targetE1EEEvSF_.num_named_barrier, 0
	.set _ZN7rocprim17ROCPRIM_400000_NS6detail17trampoline_kernelINS0_14default_configENS1_22reduce_config_selectorIfEEZNS1_11reduce_implILb1ES3_PfS7_fN6thrust23THRUST_200600_302600_NS4plusIfEEEE10hipError_tPvRmT1_T2_T3_mT4_P12ihipStream_tbEUlT_E0_NS1_11comp_targetILNS1_3genE5ELNS1_11target_archE942ELNS1_3gpuE9ELNS1_3repE0EEENS1_30default_config_static_selectorELNS0_4arch9wavefront6targetE1EEEvSF_.private_seg_size, 0
	.set _ZN7rocprim17ROCPRIM_400000_NS6detail17trampoline_kernelINS0_14default_configENS1_22reduce_config_selectorIfEEZNS1_11reduce_implILb1ES3_PfS7_fN6thrust23THRUST_200600_302600_NS4plusIfEEEE10hipError_tPvRmT1_T2_T3_mT4_P12ihipStream_tbEUlT_E0_NS1_11comp_targetILNS1_3genE5ELNS1_11target_archE942ELNS1_3gpuE9ELNS1_3repE0EEENS1_30default_config_static_selectorELNS0_4arch9wavefront6targetE1EEEvSF_.uses_vcc, 0
	.set _ZN7rocprim17ROCPRIM_400000_NS6detail17trampoline_kernelINS0_14default_configENS1_22reduce_config_selectorIfEEZNS1_11reduce_implILb1ES3_PfS7_fN6thrust23THRUST_200600_302600_NS4plusIfEEEE10hipError_tPvRmT1_T2_T3_mT4_P12ihipStream_tbEUlT_E0_NS1_11comp_targetILNS1_3genE5ELNS1_11target_archE942ELNS1_3gpuE9ELNS1_3repE0EEENS1_30default_config_static_selectorELNS0_4arch9wavefront6targetE1EEEvSF_.uses_flat_scratch, 0
	.set _ZN7rocprim17ROCPRIM_400000_NS6detail17trampoline_kernelINS0_14default_configENS1_22reduce_config_selectorIfEEZNS1_11reduce_implILb1ES3_PfS7_fN6thrust23THRUST_200600_302600_NS4plusIfEEEE10hipError_tPvRmT1_T2_T3_mT4_P12ihipStream_tbEUlT_E0_NS1_11comp_targetILNS1_3genE5ELNS1_11target_archE942ELNS1_3gpuE9ELNS1_3repE0EEENS1_30default_config_static_selectorELNS0_4arch9wavefront6targetE1EEEvSF_.has_dyn_sized_stack, 0
	.set _ZN7rocprim17ROCPRIM_400000_NS6detail17trampoline_kernelINS0_14default_configENS1_22reduce_config_selectorIfEEZNS1_11reduce_implILb1ES3_PfS7_fN6thrust23THRUST_200600_302600_NS4plusIfEEEE10hipError_tPvRmT1_T2_T3_mT4_P12ihipStream_tbEUlT_E0_NS1_11comp_targetILNS1_3genE5ELNS1_11target_archE942ELNS1_3gpuE9ELNS1_3repE0EEENS1_30default_config_static_selectorELNS0_4arch9wavefront6targetE1EEEvSF_.has_recursion, 0
	.set _ZN7rocprim17ROCPRIM_400000_NS6detail17trampoline_kernelINS0_14default_configENS1_22reduce_config_selectorIfEEZNS1_11reduce_implILb1ES3_PfS7_fN6thrust23THRUST_200600_302600_NS4plusIfEEEE10hipError_tPvRmT1_T2_T3_mT4_P12ihipStream_tbEUlT_E0_NS1_11comp_targetILNS1_3genE5ELNS1_11target_archE942ELNS1_3gpuE9ELNS1_3repE0EEENS1_30default_config_static_selectorELNS0_4arch9wavefront6targetE1EEEvSF_.has_indirect_call, 0
	.section	.AMDGPU.csdata,"",@progbits
; Kernel info:
; codeLenInByte = 0
; TotalNumSgprs: 4
; NumVgprs: 0
; ScratchSize: 0
; MemoryBound: 0
; FloatMode: 240
; IeeeMode: 1
; LDSByteSize: 0 bytes/workgroup (compile time only)
; SGPRBlocks: 0
; VGPRBlocks: 0
; NumSGPRsForWavesPerEU: 4
; NumVGPRsForWavesPerEU: 1
; Occupancy: 10
; WaveLimiterHint : 0
; COMPUTE_PGM_RSRC2:SCRATCH_EN: 0
; COMPUTE_PGM_RSRC2:USER_SGPR: 6
; COMPUTE_PGM_RSRC2:TRAP_HANDLER: 0
; COMPUTE_PGM_RSRC2:TGID_X_EN: 1
; COMPUTE_PGM_RSRC2:TGID_Y_EN: 0
; COMPUTE_PGM_RSRC2:TGID_Z_EN: 0
; COMPUTE_PGM_RSRC2:TIDIG_COMP_CNT: 0
	.section	.text._ZN7rocprim17ROCPRIM_400000_NS6detail17trampoline_kernelINS0_14default_configENS1_22reduce_config_selectorIfEEZNS1_11reduce_implILb1ES3_PfS7_fN6thrust23THRUST_200600_302600_NS4plusIfEEEE10hipError_tPvRmT1_T2_T3_mT4_P12ihipStream_tbEUlT_E0_NS1_11comp_targetILNS1_3genE4ELNS1_11target_archE910ELNS1_3gpuE8ELNS1_3repE0EEENS1_30default_config_static_selectorELNS0_4arch9wavefront6targetE1EEEvSF_,"axG",@progbits,_ZN7rocprim17ROCPRIM_400000_NS6detail17trampoline_kernelINS0_14default_configENS1_22reduce_config_selectorIfEEZNS1_11reduce_implILb1ES3_PfS7_fN6thrust23THRUST_200600_302600_NS4plusIfEEEE10hipError_tPvRmT1_T2_T3_mT4_P12ihipStream_tbEUlT_E0_NS1_11comp_targetILNS1_3genE4ELNS1_11target_archE910ELNS1_3gpuE8ELNS1_3repE0EEENS1_30default_config_static_selectorELNS0_4arch9wavefront6targetE1EEEvSF_,comdat
	.protected	_ZN7rocprim17ROCPRIM_400000_NS6detail17trampoline_kernelINS0_14default_configENS1_22reduce_config_selectorIfEEZNS1_11reduce_implILb1ES3_PfS7_fN6thrust23THRUST_200600_302600_NS4plusIfEEEE10hipError_tPvRmT1_T2_T3_mT4_P12ihipStream_tbEUlT_E0_NS1_11comp_targetILNS1_3genE4ELNS1_11target_archE910ELNS1_3gpuE8ELNS1_3repE0EEENS1_30default_config_static_selectorELNS0_4arch9wavefront6targetE1EEEvSF_ ; -- Begin function _ZN7rocprim17ROCPRIM_400000_NS6detail17trampoline_kernelINS0_14default_configENS1_22reduce_config_selectorIfEEZNS1_11reduce_implILb1ES3_PfS7_fN6thrust23THRUST_200600_302600_NS4plusIfEEEE10hipError_tPvRmT1_T2_T3_mT4_P12ihipStream_tbEUlT_E0_NS1_11comp_targetILNS1_3genE4ELNS1_11target_archE910ELNS1_3gpuE8ELNS1_3repE0EEENS1_30default_config_static_selectorELNS0_4arch9wavefront6targetE1EEEvSF_
	.globl	_ZN7rocprim17ROCPRIM_400000_NS6detail17trampoline_kernelINS0_14default_configENS1_22reduce_config_selectorIfEEZNS1_11reduce_implILb1ES3_PfS7_fN6thrust23THRUST_200600_302600_NS4plusIfEEEE10hipError_tPvRmT1_T2_T3_mT4_P12ihipStream_tbEUlT_E0_NS1_11comp_targetILNS1_3genE4ELNS1_11target_archE910ELNS1_3gpuE8ELNS1_3repE0EEENS1_30default_config_static_selectorELNS0_4arch9wavefront6targetE1EEEvSF_
	.p2align	8
	.type	_ZN7rocprim17ROCPRIM_400000_NS6detail17trampoline_kernelINS0_14default_configENS1_22reduce_config_selectorIfEEZNS1_11reduce_implILb1ES3_PfS7_fN6thrust23THRUST_200600_302600_NS4plusIfEEEE10hipError_tPvRmT1_T2_T3_mT4_P12ihipStream_tbEUlT_E0_NS1_11comp_targetILNS1_3genE4ELNS1_11target_archE910ELNS1_3gpuE8ELNS1_3repE0EEENS1_30default_config_static_selectorELNS0_4arch9wavefront6targetE1EEEvSF_,@function
_ZN7rocprim17ROCPRIM_400000_NS6detail17trampoline_kernelINS0_14default_configENS1_22reduce_config_selectorIfEEZNS1_11reduce_implILb1ES3_PfS7_fN6thrust23THRUST_200600_302600_NS4plusIfEEEE10hipError_tPvRmT1_T2_T3_mT4_P12ihipStream_tbEUlT_E0_NS1_11comp_targetILNS1_3genE4ELNS1_11target_archE910ELNS1_3gpuE8ELNS1_3repE0EEENS1_30default_config_static_selectorELNS0_4arch9wavefront6targetE1EEEvSF_: ; @_ZN7rocprim17ROCPRIM_400000_NS6detail17trampoline_kernelINS0_14default_configENS1_22reduce_config_selectorIfEEZNS1_11reduce_implILb1ES3_PfS7_fN6thrust23THRUST_200600_302600_NS4plusIfEEEE10hipError_tPvRmT1_T2_T3_mT4_P12ihipStream_tbEUlT_E0_NS1_11comp_targetILNS1_3genE4ELNS1_11target_archE910ELNS1_3gpuE8ELNS1_3repE0EEENS1_30default_config_static_selectorELNS0_4arch9wavefront6targetE1EEEvSF_
; %bb.0:
	.section	.rodata,"a",@progbits
	.p2align	6, 0x0
	.amdhsa_kernel _ZN7rocprim17ROCPRIM_400000_NS6detail17trampoline_kernelINS0_14default_configENS1_22reduce_config_selectorIfEEZNS1_11reduce_implILb1ES3_PfS7_fN6thrust23THRUST_200600_302600_NS4plusIfEEEE10hipError_tPvRmT1_T2_T3_mT4_P12ihipStream_tbEUlT_E0_NS1_11comp_targetILNS1_3genE4ELNS1_11target_archE910ELNS1_3gpuE8ELNS1_3repE0EEENS1_30default_config_static_selectorELNS0_4arch9wavefront6targetE1EEEvSF_
		.amdhsa_group_segment_fixed_size 0
		.amdhsa_private_segment_fixed_size 0
		.amdhsa_kernarg_size 56
		.amdhsa_user_sgpr_count 6
		.amdhsa_user_sgpr_private_segment_buffer 1
		.amdhsa_user_sgpr_dispatch_ptr 0
		.amdhsa_user_sgpr_queue_ptr 0
		.amdhsa_user_sgpr_kernarg_segment_ptr 1
		.amdhsa_user_sgpr_dispatch_id 0
		.amdhsa_user_sgpr_flat_scratch_init 0
		.amdhsa_user_sgpr_private_segment_size 0
		.amdhsa_uses_dynamic_stack 0
		.amdhsa_system_sgpr_private_segment_wavefront_offset 0
		.amdhsa_system_sgpr_workgroup_id_x 1
		.amdhsa_system_sgpr_workgroup_id_y 0
		.amdhsa_system_sgpr_workgroup_id_z 0
		.amdhsa_system_sgpr_workgroup_info 0
		.amdhsa_system_vgpr_workitem_id 0
		.amdhsa_next_free_vgpr 1
		.amdhsa_next_free_sgpr 0
		.amdhsa_reserve_vcc 0
		.amdhsa_reserve_flat_scratch 0
		.amdhsa_float_round_mode_32 0
		.amdhsa_float_round_mode_16_64 0
		.amdhsa_float_denorm_mode_32 3
		.amdhsa_float_denorm_mode_16_64 3
		.amdhsa_dx10_clamp 1
		.amdhsa_ieee_mode 1
		.amdhsa_fp16_overflow 0
		.amdhsa_exception_fp_ieee_invalid_op 0
		.amdhsa_exception_fp_denorm_src 0
		.amdhsa_exception_fp_ieee_div_zero 0
		.amdhsa_exception_fp_ieee_overflow 0
		.amdhsa_exception_fp_ieee_underflow 0
		.amdhsa_exception_fp_ieee_inexact 0
		.amdhsa_exception_int_div_zero 0
	.end_amdhsa_kernel
	.section	.text._ZN7rocprim17ROCPRIM_400000_NS6detail17trampoline_kernelINS0_14default_configENS1_22reduce_config_selectorIfEEZNS1_11reduce_implILb1ES3_PfS7_fN6thrust23THRUST_200600_302600_NS4plusIfEEEE10hipError_tPvRmT1_T2_T3_mT4_P12ihipStream_tbEUlT_E0_NS1_11comp_targetILNS1_3genE4ELNS1_11target_archE910ELNS1_3gpuE8ELNS1_3repE0EEENS1_30default_config_static_selectorELNS0_4arch9wavefront6targetE1EEEvSF_,"axG",@progbits,_ZN7rocprim17ROCPRIM_400000_NS6detail17trampoline_kernelINS0_14default_configENS1_22reduce_config_selectorIfEEZNS1_11reduce_implILb1ES3_PfS7_fN6thrust23THRUST_200600_302600_NS4plusIfEEEE10hipError_tPvRmT1_T2_T3_mT4_P12ihipStream_tbEUlT_E0_NS1_11comp_targetILNS1_3genE4ELNS1_11target_archE910ELNS1_3gpuE8ELNS1_3repE0EEENS1_30default_config_static_selectorELNS0_4arch9wavefront6targetE1EEEvSF_,comdat
.Lfunc_end2:
	.size	_ZN7rocprim17ROCPRIM_400000_NS6detail17trampoline_kernelINS0_14default_configENS1_22reduce_config_selectorIfEEZNS1_11reduce_implILb1ES3_PfS7_fN6thrust23THRUST_200600_302600_NS4plusIfEEEE10hipError_tPvRmT1_T2_T3_mT4_P12ihipStream_tbEUlT_E0_NS1_11comp_targetILNS1_3genE4ELNS1_11target_archE910ELNS1_3gpuE8ELNS1_3repE0EEENS1_30default_config_static_selectorELNS0_4arch9wavefront6targetE1EEEvSF_, .Lfunc_end2-_ZN7rocprim17ROCPRIM_400000_NS6detail17trampoline_kernelINS0_14default_configENS1_22reduce_config_selectorIfEEZNS1_11reduce_implILb1ES3_PfS7_fN6thrust23THRUST_200600_302600_NS4plusIfEEEE10hipError_tPvRmT1_T2_T3_mT4_P12ihipStream_tbEUlT_E0_NS1_11comp_targetILNS1_3genE4ELNS1_11target_archE910ELNS1_3gpuE8ELNS1_3repE0EEENS1_30default_config_static_selectorELNS0_4arch9wavefront6targetE1EEEvSF_
                                        ; -- End function
	.set _ZN7rocprim17ROCPRIM_400000_NS6detail17trampoline_kernelINS0_14default_configENS1_22reduce_config_selectorIfEEZNS1_11reduce_implILb1ES3_PfS7_fN6thrust23THRUST_200600_302600_NS4plusIfEEEE10hipError_tPvRmT1_T2_T3_mT4_P12ihipStream_tbEUlT_E0_NS1_11comp_targetILNS1_3genE4ELNS1_11target_archE910ELNS1_3gpuE8ELNS1_3repE0EEENS1_30default_config_static_selectorELNS0_4arch9wavefront6targetE1EEEvSF_.num_vgpr, 0
	.set _ZN7rocprim17ROCPRIM_400000_NS6detail17trampoline_kernelINS0_14default_configENS1_22reduce_config_selectorIfEEZNS1_11reduce_implILb1ES3_PfS7_fN6thrust23THRUST_200600_302600_NS4plusIfEEEE10hipError_tPvRmT1_T2_T3_mT4_P12ihipStream_tbEUlT_E0_NS1_11comp_targetILNS1_3genE4ELNS1_11target_archE910ELNS1_3gpuE8ELNS1_3repE0EEENS1_30default_config_static_selectorELNS0_4arch9wavefront6targetE1EEEvSF_.num_agpr, 0
	.set _ZN7rocprim17ROCPRIM_400000_NS6detail17trampoline_kernelINS0_14default_configENS1_22reduce_config_selectorIfEEZNS1_11reduce_implILb1ES3_PfS7_fN6thrust23THRUST_200600_302600_NS4plusIfEEEE10hipError_tPvRmT1_T2_T3_mT4_P12ihipStream_tbEUlT_E0_NS1_11comp_targetILNS1_3genE4ELNS1_11target_archE910ELNS1_3gpuE8ELNS1_3repE0EEENS1_30default_config_static_selectorELNS0_4arch9wavefront6targetE1EEEvSF_.numbered_sgpr, 0
	.set _ZN7rocprim17ROCPRIM_400000_NS6detail17trampoline_kernelINS0_14default_configENS1_22reduce_config_selectorIfEEZNS1_11reduce_implILb1ES3_PfS7_fN6thrust23THRUST_200600_302600_NS4plusIfEEEE10hipError_tPvRmT1_T2_T3_mT4_P12ihipStream_tbEUlT_E0_NS1_11comp_targetILNS1_3genE4ELNS1_11target_archE910ELNS1_3gpuE8ELNS1_3repE0EEENS1_30default_config_static_selectorELNS0_4arch9wavefront6targetE1EEEvSF_.num_named_barrier, 0
	.set _ZN7rocprim17ROCPRIM_400000_NS6detail17trampoline_kernelINS0_14default_configENS1_22reduce_config_selectorIfEEZNS1_11reduce_implILb1ES3_PfS7_fN6thrust23THRUST_200600_302600_NS4plusIfEEEE10hipError_tPvRmT1_T2_T3_mT4_P12ihipStream_tbEUlT_E0_NS1_11comp_targetILNS1_3genE4ELNS1_11target_archE910ELNS1_3gpuE8ELNS1_3repE0EEENS1_30default_config_static_selectorELNS0_4arch9wavefront6targetE1EEEvSF_.private_seg_size, 0
	.set _ZN7rocprim17ROCPRIM_400000_NS6detail17trampoline_kernelINS0_14default_configENS1_22reduce_config_selectorIfEEZNS1_11reduce_implILb1ES3_PfS7_fN6thrust23THRUST_200600_302600_NS4plusIfEEEE10hipError_tPvRmT1_T2_T3_mT4_P12ihipStream_tbEUlT_E0_NS1_11comp_targetILNS1_3genE4ELNS1_11target_archE910ELNS1_3gpuE8ELNS1_3repE0EEENS1_30default_config_static_selectorELNS0_4arch9wavefront6targetE1EEEvSF_.uses_vcc, 0
	.set _ZN7rocprim17ROCPRIM_400000_NS6detail17trampoline_kernelINS0_14default_configENS1_22reduce_config_selectorIfEEZNS1_11reduce_implILb1ES3_PfS7_fN6thrust23THRUST_200600_302600_NS4plusIfEEEE10hipError_tPvRmT1_T2_T3_mT4_P12ihipStream_tbEUlT_E0_NS1_11comp_targetILNS1_3genE4ELNS1_11target_archE910ELNS1_3gpuE8ELNS1_3repE0EEENS1_30default_config_static_selectorELNS0_4arch9wavefront6targetE1EEEvSF_.uses_flat_scratch, 0
	.set _ZN7rocprim17ROCPRIM_400000_NS6detail17trampoline_kernelINS0_14default_configENS1_22reduce_config_selectorIfEEZNS1_11reduce_implILb1ES3_PfS7_fN6thrust23THRUST_200600_302600_NS4plusIfEEEE10hipError_tPvRmT1_T2_T3_mT4_P12ihipStream_tbEUlT_E0_NS1_11comp_targetILNS1_3genE4ELNS1_11target_archE910ELNS1_3gpuE8ELNS1_3repE0EEENS1_30default_config_static_selectorELNS0_4arch9wavefront6targetE1EEEvSF_.has_dyn_sized_stack, 0
	.set _ZN7rocprim17ROCPRIM_400000_NS6detail17trampoline_kernelINS0_14default_configENS1_22reduce_config_selectorIfEEZNS1_11reduce_implILb1ES3_PfS7_fN6thrust23THRUST_200600_302600_NS4plusIfEEEE10hipError_tPvRmT1_T2_T3_mT4_P12ihipStream_tbEUlT_E0_NS1_11comp_targetILNS1_3genE4ELNS1_11target_archE910ELNS1_3gpuE8ELNS1_3repE0EEENS1_30default_config_static_selectorELNS0_4arch9wavefront6targetE1EEEvSF_.has_recursion, 0
	.set _ZN7rocprim17ROCPRIM_400000_NS6detail17trampoline_kernelINS0_14default_configENS1_22reduce_config_selectorIfEEZNS1_11reduce_implILb1ES3_PfS7_fN6thrust23THRUST_200600_302600_NS4plusIfEEEE10hipError_tPvRmT1_T2_T3_mT4_P12ihipStream_tbEUlT_E0_NS1_11comp_targetILNS1_3genE4ELNS1_11target_archE910ELNS1_3gpuE8ELNS1_3repE0EEENS1_30default_config_static_selectorELNS0_4arch9wavefront6targetE1EEEvSF_.has_indirect_call, 0
	.section	.AMDGPU.csdata,"",@progbits
; Kernel info:
; codeLenInByte = 0
; TotalNumSgprs: 4
; NumVgprs: 0
; ScratchSize: 0
; MemoryBound: 0
; FloatMode: 240
; IeeeMode: 1
; LDSByteSize: 0 bytes/workgroup (compile time only)
; SGPRBlocks: 0
; VGPRBlocks: 0
; NumSGPRsForWavesPerEU: 4
; NumVGPRsForWavesPerEU: 1
; Occupancy: 10
; WaveLimiterHint : 0
; COMPUTE_PGM_RSRC2:SCRATCH_EN: 0
; COMPUTE_PGM_RSRC2:USER_SGPR: 6
; COMPUTE_PGM_RSRC2:TRAP_HANDLER: 0
; COMPUTE_PGM_RSRC2:TGID_X_EN: 1
; COMPUTE_PGM_RSRC2:TGID_Y_EN: 0
; COMPUTE_PGM_RSRC2:TGID_Z_EN: 0
; COMPUTE_PGM_RSRC2:TIDIG_COMP_CNT: 0
	.section	.text._ZN7rocprim17ROCPRIM_400000_NS6detail17trampoline_kernelINS0_14default_configENS1_22reduce_config_selectorIfEEZNS1_11reduce_implILb1ES3_PfS7_fN6thrust23THRUST_200600_302600_NS4plusIfEEEE10hipError_tPvRmT1_T2_T3_mT4_P12ihipStream_tbEUlT_E0_NS1_11comp_targetILNS1_3genE3ELNS1_11target_archE908ELNS1_3gpuE7ELNS1_3repE0EEENS1_30default_config_static_selectorELNS0_4arch9wavefront6targetE1EEEvSF_,"axG",@progbits,_ZN7rocprim17ROCPRIM_400000_NS6detail17trampoline_kernelINS0_14default_configENS1_22reduce_config_selectorIfEEZNS1_11reduce_implILb1ES3_PfS7_fN6thrust23THRUST_200600_302600_NS4plusIfEEEE10hipError_tPvRmT1_T2_T3_mT4_P12ihipStream_tbEUlT_E0_NS1_11comp_targetILNS1_3genE3ELNS1_11target_archE908ELNS1_3gpuE7ELNS1_3repE0EEENS1_30default_config_static_selectorELNS0_4arch9wavefront6targetE1EEEvSF_,comdat
	.protected	_ZN7rocprim17ROCPRIM_400000_NS6detail17trampoline_kernelINS0_14default_configENS1_22reduce_config_selectorIfEEZNS1_11reduce_implILb1ES3_PfS7_fN6thrust23THRUST_200600_302600_NS4plusIfEEEE10hipError_tPvRmT1_T2_T3_mT4_P12ihipStream_tbEUlT_E0_NS1_11comp_targetILNS1_3genE3ELNS1_11target_archE908ELNS1_3gpuE7ELNS1_3repE0EEENS1_30default_config_static_selectorELNS0_4arch9wavefront6targetE1EEEvSF_ ; -- Begin function _ZN7rocprim17ROCPRIM_400000_NS6detail17trampoline_kernelINS0_14default_configENS1_22reduce_config_selectorIfEEZNS1_11reduce_implILb1ES3_PfS7_fN6thrust23THRUST_200600_302600_NS4plusIfEEEE10hipError_tPvRmT1_T2_T3_mT4_P12ihipStream_tbEUlT_E0_NS1_11comp_targetILNS1_3genE3ELNS1_11target_archE908ELNS1_3gpuE7ELNS1_3repE0EEENS1_30default_config_static_selectorELNS0_4arch9wavefront6targetE1EEEvSF_
	.globl	_ZN7rocprim17ROCPRIM_400000_NS6detail17trampoline_kernelINS0_14default_configENS1_22reduce_config_selectorIfEEZNS1_11reduce_implILb1ES3_PfS7_fN6thrust23THRUST_200600_302600_NS4plusIfEEEE10hipError_tPvRmT1_T2_T3_mT4_P12ihipStream_tbEUlT_E0_NS1_11comp_targetILNS1_3genE3ELNS1_11target_archE908ELNS1_3gpuE7ELNS1_3repE0EEENS1_30default_config_static_selectorELNS0_4arch9wavefront6targetE1EEEvSF_
	.p2align	8
	.type	_ZN7rocprim17ROCPRIM_400000_NS6detail17trampoline_kernelINS0_14default_configENS1_22reduce_config_selectorIfEEZNS1_11reduce_implILb1ES3_PfS7_fN6thrust23THRUST_200600_302600_NS4plusIfEEEE10hipError_tPvRmT1_T2_T3_mT4_P12ihipStream_tbEUlT_E0_NS1_11comp_targetILNS1_3genE3ELNS1_11target_archE908ELNS1_3gpuE7ELNS1_3repE0EEENS1_30default_config_static_selectorELNS0_4arch9wavefront6targetE1EEEvSF_,@function
_ZN7rocprim17ROCPRIM_400000_NS6detail17trampoline_kernelINS0_14default_configENS1_22reduce_config_selectorIfEEZNS1_11reduce_implILb1ES3_PfS7_fN6thrust23THRUST_200600_302600_NS4plusIfEEEE10hipError_tPvRmT1_T2_T3_mT4_P12ihipStream_tbEUlT_E0_NS1_11comp_targetILNS1_3genE3ELNS1_11target_archE908ELNS1_3gpuE7ELNS1_3repE0EEENS1_30default_config_static_selectorELNS0_4arch9wavefront6targetE1EEEvSF_: ; @_ZN7rocprim17ROCPRIM_400000_NS6detail17trampoline_kernelINS0_14default_configENS1_22reduce_config_selectorIfEEZNS1_11reduce_implILb1ES3_PfS7_fN6thrust23THRUST_200600_302600_NS4plusIfEEEE10hipError_tPvRmT1_T2_T3_mT4_P12ihipStream_tbEUlT_E0_NS1_11comp_targetILNS1_3genE3ELNS1_11target_archE908ELNS1_3gpuE7ELNS1_3repE0EEENS1_30default_config_static_selectorELNS0_4arch9wavefront6targetE1EEEvSF_
; %bb.0:
	.section	.rodata,"a",@progbits
	.p2align	6, 0x0
	.amdhsa_kernel _ZN7rocprim17ROCPRIM_400000_NS6detail17trampoline_kernelINS0_14default_configENS1_22reduce_config_selectorIfEEZNS1_11reduce_implILb1ES3_PfS7_fN6thrust23THRUST_200600_302600_NS4plusIfEEEE10hipError_tPvRmT1_T2_T3_mT4_P12ihipStream_tbEUlT_E0_NS1_11comp_targetILNS1_3genE3ELNS1_11target_archE908ELNS1_3gpuE7ELNS1_3repE0EEENS1_30default_config_static_selectorELNS0_4arch9wavefront6targetE1EEEvSF_
		.amdhsa_group_segment_fixed_size 0
		.amdhsa_private_segment_fixed_size 0
		.amdhsa_kernarg_size 56
		.amdhsa_user_sgpr_count 6
		.amdhsa_user_sgpr_private_segment_buffer 1
		.amdhsa_user_sgpr_dispatch_ptr 0
		.amdhsa_user_sgpr_queue_ptr 0
		.amdhsa_user_sgpr_kernarg_segment_ptr 1
		.amdhsa_user_sgpr_dispatch_id 0
		.amdhsa_user_sgpr_flat_scratch_init 0
		.amdhsa_user_sgpr_private_segment_size 0
		.amdhsa_uses_dynamic_stack 0
		.amdhsa_system_sgpr_private_segment_wavefront_offset 0
		.amdhsa_system_sgpr_workgroup_id_x 1
		.amdhsa_system_sgpr_workgroup_id_y 0
		.amdhsa_system_sgpr_workgroup_id_z 0
		.amdhsa_system_sgpr_workgroup_info 0
		.amdhsa_system_vgpr_workitem_id 0
		.amdhsa_next_free_vgpr 1
		.amdhsa_next_free_sgpr 0
		.amdhsa_reserve_vcc 0
		.amdhsa_reserve_flat_scratch 0
		.amdhsa_float_round_mode_32 0
		.amdhsa_float_round_mode_16_64 0
		.amdhsa_float_denorm_mode_32 3
		.amdhsa_float_denorm_mode_16_64 3
		.amdhsa_dx10_clamp 1
		.amdhsa_ieee_mode 1
		.amdhsa_fp16_overflow 0
		.amdhsa_exception_fp_ieee_invalid_op 0
		.amdhsa_exception_fp_denorm_src 0
		.amdhsa_exception_fp_ieee_div_zero 0
		.amdhsa_exception_fp_ieee_overflow 0
		.amdhsa_exception_fp_ieee_underflow 0
		.amdhsa_exception_fp_ieee_inexact 0
		.amdhsa_exception_int_div_zero 0
	.end_amdhsa_kernel
	.section	.text._ZN7rocprim17ROCPRIM_400000_NS6detail17trampoline_kernelINS0_14default_configENS1_22reduce_config_selectorIfEEZNS1_11reduce_implILb1ES3_PfS7_fN6thrust23THRUST_200600_302600_NS4plusIfEEEE10hipError_tPvRmT1_T2_T3_mT4_P12ihipStream_tbEUlT_E0_NS1_11comp_targetILNS1_3genE3ELNS1_11target_archE908ELNS1_3gpuE7ELNS1_3repE0EEENS1_30default_config_static_selectorELNS0_4arch9wavefront6targetE1EEEvSF_,"axG",@progbits,_ZN7rocprim17ROCPRIM_400000_NS6detail17trampoline_kernelINS0_14default_configENS1_22reduce_config_selectorIfEEZNS1_11reduce_implILb1ES3_PfS7_fN6thrust23THRUST_200600_302600_NS4plusIfEEEE10hipError_tPvRmT1_T2_T3_mT4_P12ihipStream_tbEUlT_E0_NS1_11comp_targetILNS1_3genE3ELNS1_11target_archE908ELNS1_3gpuE7ELNS1_3repE0EEENS1_30default_config_static_selectorELNS0_4arch9wavefront6targetE1EEEvSF_,comdat
.Lfunc_end3:
	.size	_ZN7rocprim17ROCPRIM_400000_NS6detail17trampoline_kernelINS0_14default_configENS1_22reduce_config_selectorIfEEZNS1_11reduce_implILb1ES3_PfS7_fN6thrust23THRUST_200600_302600_NS4plusIfEEEE10hipError_tPvRmT1_T2_T3_mT4_P12ihipStream_tbEUlT_E0_NS1_11comp_targetILNS1_3genE3ELNS1_11target_archE908ELNS1_3gpuE7ELNS1_3repE0EEENS1_30default_config_static_selectorELNS0_4arch9wavefront6targetE1EEEvSF_, .Lfunc_end3-_ZN7rocprim17ROCPRIM_400000_NS6detail17trampoline_kernelINS0_14default_configENS1_22reduce_config_selectorIfEEZNS1_11reduce_implILb1ES3_PfS7_fN6thrust23THRUST_200600_302600_NS4plusIfEEEE10hipError_tPvRmT1_T2_T3_mT4_P12ihipStream_tbEUlT_E0_NS1_11comp_targetILNS1_3genE3ELNS1_11target_archE908ELNS1_3gpuE7ELNS1_3repE0EEENS1_30default_config_static_selectorELNS0_4arch9wavefront6targetE1EEEvSF_
                                        ; -- End function
	.set _ZN7rocprim17ROCPRIM_400000_NS6detail17trampoline_kernelINS0_14default_configENS1_22reduce_config_selectorIfEEZNS1_11reduce_implILb1ES3_PfS7_fN6thrust23THRUST_200600_302600_NS4plusIfEEEE10hipError_tPvRmT1_T2_T3_mT4_P12ihipStream_tbEUlT_E0_NS1_11comp_targetILNS1_3genE3ELNS1_11target_archE908ELNS1_3gpuE7ELNS1_3repE0EEENS1_30default_config_static_selectorELNS0_4arch9wavefront6targetE1EEEvSF_.num_vgpr, 0
	.set _ZN7rocprim17ROCPRIM_400000_NS6detail17trampoline_kernelINS0_14default_configENS1_22reduce_config_selectorIfEEZNS1_11reduce_implILb1ES3_PfS7_fN6thrust23THRUST_200600_302600_NS4plusIfEEEE10hipError_tPvRmT1_T2_T3_mT4_P12ihipStream_tbEUlT_E0_NS1_11comp_targetILNS1_3genE3ELNS1_11target_archE908ELNS1_3gpuE7ELNS1_3repE0EEENS1_30default_config_static_selectorELNS0_4arch9wavefront6targetE1EEEvSF_.num_agpr, 0
	.set _ZN7rocprim17ROCPRIM_400000_NS6detail17trampoline_kernelINS0_14default_configENS1_22reduce_config_selectorIfEEZNS1_11reduce_implILb1ES3_PfS7_fN6thrust23THRUST_200600_302600_NS4plusIfEEEE10hipError_tPvRmT1_T2_T3_mT4_P12ihipStream_tbEUlT_E0_NS1_11comp_targetILNS1_3genE3ELNS1_11target_archE908ELNS1_3gpuE7ELNS1_3repE0EEENS1_30default_config_static_selectorELNS0_4arch9wavefront6targetE1EEEvSF_.numbered_sgpr, 0
	.set _ZN7rocprim17ROCPRIM_400000_NS6detail17trampoline_kernelINS0_14default_configENS1_22reduce_config_selectorIfEEZNS1_11reduce_implILb1ES3_PfS7_fN6thrust23THRUST_200600_302600_NS4plusIfEEEE10hipError_tPvRmT1_T2_T3_mT4_P12ihipStream_tbEUlT_E0_NS1_11comp_targetILNS1_3genE3ELNS1_11target_archE908ELNS1_3gpuE7ELNS1_3repE0EEENS1_30default_config_static_selectorELNS0_4arch9wavefront6targetE1EEEvSF_.num_named_barrier, 0
	.set _ZN7rocprim17ROCPRIM_400000_NS6detail17trampoline_kernelINS0_14default_configENS1_22reduce_config_selectorIfEEZNS1_11reduce_implILb1ES3_PfS7_fN6thrust23THRUST_200600_302600_NS4plusIfEEEE10hipError_tPvRmT1_T2_T3_mT4_P12ihipStream_tbEUlT_E0_NS1_11comp_targetILNS1_3genE3ELNS1_11target_archE908ELNS1_3gpuE7ELNS1_3repE0EEENS1_30default_config_static_selectorELNS0_4arch9wavefront6targetE1EEEvSF_.private_seg_size, 0
	.set _ZN7rocprim17ROCPRIM_400000_NS6detail17trampoline_kernelINS0_14default_configENS1_22reduce_config_selectorIfEEZNS1_11reduce_implILb1ES3_PfS7_fN6thrust23THRUST_200600_302600_NS4plusIfEEEE10hipError_tPvRmT1_T2_T3_mT4_P12ihipStream_tbEUlT_E0_NS1_11comp_targetILNS1_3genE3ELNS1_11target_archE908ELNS1_3gpuE7ELNS1_3repE0EEENS1_30default_config_static_selectorELNS0_4arch9wavefront6targetE1EEEvSF_.uses_vcc, 0
	.set _ZN7rocprim17ROCPRIM_400000_NS6detail17trampoline_kernelINS0_14default_configENS1_22reduce_config_selectorIfEEZNS1_11reduce_implILb1ES3_PfS7_fN6thrust23THRUST_200600_302600_NS4plusIfEEEE10hipError_tPvRmT1_T2_T3_mT4_P12ihipStream_tbEUlT_E0_NS1_11comp_targetILNS1_3genE3ELNS1_11target_archE908ELNS1_3gpuE7ELNS1_3repE0EEENS1_30default_config_static_selectorELNS0_4arch9wavefront6targetE1EEEvSF_.uses_flat_scratch, 0
	.set _ZN7rocprim17ROCPRIM_400000_NS6detail17trampoline_kernelINS0_14default_configENS1_22reduce_config_selectorIfEEZNS1_11reduce_implILb1ES3_PfS7_fN6thrust23THRUST_200600_302600_NS4plusIfEEEE10hipError_tPvRmT1_T2_T3_mT4_P12ihipStream_tbEUlT_E0_NS1_11comp_targetILNS1_3genE3ELNS1_11target_archE908ELNS1_3gpuE7ELNS1_3repE0EEENS1_30default_config_static_selectorELNS0_4arch9wavefront6targetE1EEEvSF_.has_dyn_sized_stack, 0
	.set _ZN7rocprim17ROCPRIM_400000_NS6detail17trampoline_kernelINS0_14default_configENS1_22reduce_config_selectorIfEEZNS1_11reduce_implILb1ES3_PfS7_fN6thrust23THRUST_200600_302600_NS4plusIfEEEE10hipError_tPvRmT1_T2_T3_mT4_P12ihipStream_tbEUlT_E0_NS1_11comp_targetILNS1_3genE3ELNS1_11target_archE908ELNS1_3gpuE7ELNS1_3repE0EEENS1_30default_config_static_selectorELNS0_4arch9wavefront6targetE1EEEvSF_.has_recursion, 0
	.set _ZN7rocprim17ROCPRIM_400000_NS6detail17trampoline_kernelINS0_14default_configENS1_22reduce_config_selectorIfEEZNS1_11reduce_implILb1ES3_PfS7_fN6thrust23THRUST_200600_302600_NS4plusIfEEEE10hipError_tPvRmT1_T2_T3_mT4_P12ihipStream_tbEUlT_E0_NS1_11comp_targetILNS1_3genE3ELNS1_11target_archE908ELNS1_3gpuE7ELNS1_3repE0EEENS1_30default_config_static_selectorELNS0_4arch9wavefront6targetE1EEEvSF_.has_indirect_call, 0
	.section	.AMDGPU.csdata,"",@progbits
; Kernel info:
; codeLenInByte = 0
; TotalNumSgprs: 4
; NumVgprs: 0
; ScratchSize: 0
; MemoryBound: 0
; FloatMode: 240
; IeeeMode: 1
; LDSByteSize: 0 bytes/workgroup (compile time only)
; SGPRBlocks: 0
; VGPRBlocks: 0
; NumSGPRsForWavesPerEU: 4
; NumVGPRsForWavesPerEU: 1
; Occupancy: 10
; WaveLimiterHint : 0
; COMPUTE_PGM_RSRC2:SCRATCH_EN: 0
; COMPUTE_PGM_RSRC2:USER_SGPR: 6
; COMPUTE_PGM_RSRC2:TRAP_HANDLER: 0
; COMPUTE_PGM_RSRC2:TGID_X_EN: 1
; COMPUTE_PGM_RSRC2:TGID_Y_EN: 0
; COMPUTE_PGM_RSRC2:TGID_Z_EN: 0
; COMPUTE_PGM_RSRC2:TIDIG_COMP_CNT: 0
	.section	.text._ZN7rocprim17ROCPRIM_400000_NS6detail17trampoline_kernelINS0_14default_configENS1_22reduce_config_selectorIfEEZNS1_11reduce_implILb1ES3_PfS7_fN6thrust23THRUST_200600_302600_NS4plusIfEEEE10hipError_tPvRmT1_T2_T3_mT4_P12ihipStream_tbEUlT_E0_NS1_11comp_targetILNS1_3genE2ELNS1_11target_archE906ELNS1_3gpuE6ELNS1_3repE0EEENS1_30default_config_static_selectorELNS0_4arch9wavefront6targetE1EEEvSF_,"axG",@progbits,_ZN7rocprim17ROCPRIM_400000_NS6detail17trampoline_kernelINS0_14default_configENS1_22reduce_config_selectorIfEEZNS1_11reduce_implILb1ES3_PfS7_fN6thrust23THRUST_200600_302600_NS4plusIfEEEE10hipError_tPvRmT1_T2_T3_mT4_P12ihipStream_tbEUlT_E0_NS1_11comp_targetILNS1_3genE2ELNS1_11target_archE906ELNS1_3gpuE6ELNS1_3repE0EEENS1_30default_config_static_selectorELNS0_4arch9wavefront6targetE1EEEvSF_,comdat
	.protected	_ZN7rocprim17ROCPRIM_400000_NS6detail17trampoline_kernelINS0_14default_configENS1_22reduce_config_selectorIfEEZNS1_11reduce_implILb1ES3_PfS7_fN6thrust23THRUST_200600_302600_NS4plusIfEEEE10hipError_tPvRmT1_T2_T3_mT4_P12ihipStream_tbEUlT_E0_NS1_11comp_targetILNS1_3genE2ELNS1_11target_archE906ELNS1_3gpuE6ELNS1_3repE0EEENS1_30default_config_static_selectorELNS0_4arch9wavefront6targetE1EEEvSF_ ; -- Begin function _ZN7rocprim17ROCPRIM_400000_NS6detail17trampoline_kernelINS0_14default_configENS1_22reduce_config_selectorIfEEZNS1_11reduce_implILb1ES3_PfS7_fN6thrust23THRUST_200600_302600_NS4plusIfEEEE10hipError_tPvRmT1_T2_T3_mT4_P12ihipStream_tbEUlT_E0_NS1_11comp_targetILNS1_3genE2ELNS1_11target_archE906ELNS1_3gpuE6ELNS1_3repE0EEENS1_30default_config_static_selectorELNS0_4arch9wavefront6targetE1EEEvSF_
	.globl	_ZN7rocprim17ROCPRIM_400000_NS6detail17trampoline_kernelINS0_14default_configENS1_22reduce_config_selectorIfEEZNS1_11reduce_implILb1ES3_PfS7_fN6thrust23THRUST_200600_302600_NS4plusIfEEEE10hipError_tPvRmT1_T2_T3_mT4_P12ihipStream_tbEUlT_E0_NS1_11comp_targetILNS1_3genE2ELNS1_11target_archE906ELNS1_3gpuE6ELNS1_3repE0EEENS1_30default_config_static_selectorELNS0_4arch9wavefront6targetE1EEEvSF_
	.p2align	8
	.type	_ZN7rocprim17ROCPRIM_400000_NS6detail17trampoline_kernelINS0_14default_configENS1_22reduce_config_selectorIfEEZNS1_11reduce_implILb1ES3_PfS7_fN6thrust23THRUST_200600_302600_NS4plusIfEEEE10hipError_tPvRmT1_T2_T3_mT4_P12ihipStream_tbEUlT_E0_NS1_11comp_targetILNS1_3genE2ELNS1_11target_archE906ELNS1_3gpuE6ELNS1_3repE0EEENS1_30default_config_static_selectorELNS0_4arch9wavefront6targetE1EEEvSF_,@function
_ZN7rocprim17ROCPRIM_400000_NS6detail17trampoline_kernelINS0_14default_configENS1_22reduce_config_selectorIfEEZNS1_11reduce_implILb1ES3_PfS7_fN6thrust23THRUST_200600_302600_NS4plusIfEEEE10hipError_tPvRmT1_T2_T3_mT4_P12ihipStream_tbEUlT_E0_NS1_11comp_targetILNS1_3genE2ELNS1_11target_archE906ELNS1_3gpuE6ELNS1_3repE0EEENS1_30default_config_static_selectorELNS0_4arch9wavefront6targetE1EEEvSF_: ; @_ZN7rocprim17ROCPRIM_400000_NS6detail17trampoline_kernelINS0_14default_configENS1_22reduce_config_selectorIfEEZNS1_11reduce_implILb1ES3_PfS7_fN6thrust23THRUST_200600_302600_NS4plusIfEEEE10hipError_tPvRmT1_T2_T3_mT4_P12ihipStream_tbEUlT_E0_NS1_11comp_targetILNS1_3genE2ELNS1_11target_archE906ELNS1_3gpuE6ELNS1_3repE0EEENS1_30default_config_static_selectorELNS0_4arch9wavefront6targetE1EEEvSF_
; %bb.0:
	s_load_dwordx8 s[8:15], s[4:5], 0x0
	s_load_dwordx4 s[16:19], s[4:5], 0x20
	v_lshlrev_b32_e32 v6, 2, v0
	v_mbcnt_lo_u32_b32 v5, -1, 0
	s_waitcnt lgkmcnt(0)
	s_lshl_b64 s[0:1], s[10:11], 2
	s_add_u32 s10, s8, s0
	s_addc_u32 s11, s9, s1
	s_lshl_b32 s0, s6, 10
	s_mov_b32 s1, 0
	s_lshr_b64 s[2:3], s[12:13], 10
	s_lshl_b64 s[8:9], s[0:1], 2
	s_add_u32 s8, s10, s8
	s_mov_b32 s7, s1
	s_addc_u32 s9, s11, s9
	s_cmp_lg_u64 s[2:3], s[6:7]
	s_cbranch_scc0 .LBB4_6
; %bb.1:
	global_load_dword v1, v6, s[8:9]
	global_load_dword v4, v6, s[8:9] offset:1024
	global_load_dword v7, v6, s[8:9] offset:2048
	global_load_dword v8, v6, s[8:9] offset:3072
	v_mbcnt_hi_u32_b32 v2, -1, v5
	v_lshlrev_b32_e32 v3, 2, v2
	v_cmp_eq_u32_e32 vcc, 0, v2
	s_waitcnt vmcnt(2)
	v_add_f32_e32 v1, v1, v4
	s_waitcnt vmcnt(1)
	v_add_f32_e32 v1, v1, v7
	;; [unrolled: 2-line block ×3, first 2 shown]
	v_or_b32_e32 v4, 0xfc, v3
	s_nop 0
	v_add_f32_dpp v1, v1, v1 quad_perm:[1,0,3,2] row_mask:0xf bank_mask:0xf bound_ctrl:1
	s_nop 1
	v_add_f32_dpp v1, v1, v1 quad_perm:[2,3,0,1] row_mask:0xf bank_mask:0xf bound_ctrl:1
	s_nop 1
	v_add_f32_dpp v1, v1, v1 row_ror:4 row_mask:0xf bank_mask:0xf bound_ctrl:1
	s_nop 1
	v_add_f32_dpp v1, v1, v1 row_ror:8 row_mask:0xf bank_mask:0xf bound_ctrl:1
	s_nop 1
	v_add_f32_dpp v1, v1, v1 row_bcast:15 row_mask:0xf bank_mask:0xf bound_ctrl:1
	s_nop 1
	v_add_f32_dpp v1, v1, v1 row_bcast:31 row_mask:0xf bank_mask:0xf bound_ctrl:1
	ds_bpermute_b32 v1, v4, v1
	s_and_saveexec_b64 s[2:3], vcc
	s_cbranch_execz .LBB4_3
; %bb.2:
	v_lshrrev_b32_e32 v4, 4, v0
	v_and_b32_e32 v4, 12, v4
	s_waitcnt lgkmcnt(0)
	ds_write_b32 v4, v1
.LBB4_3:
	s_or_b64 exec, exec, s[2:3]
	v_cmp_gt_u32_e32 vcc, 64, v0
	s_waitcnt lgkmcnt(0)
	s_barrier
	s_and_saveexec_b64 s[2:3], vcc
	s_cbranch_execz .LBB4_5
; %bb.4:
	v_and_b32_e32 v1, 3, v2
	v_lshlrev_b32_e32 v4, 2, v1
	ds_read_b32 v4, v4
	v_cmp_ne_u32_e32 vcc, 3, v1
	v_addc_co_u32_e32 v1, vcc, 0, v2, vcc
	v_lshlrev_b32_e32 v1, 2, v1
	s_waitcnt lgkmcnt(0)
	ds_bpermute_b32 v1, v1, v4
	v_or_b32_e32 v2, 8, v3
	s_waitcnt lgkmcnt(0)
	v_add_f32_e32 v1, v4, v1
	ds_bpermute_b32 v2, v2, v1
	s_waitcnt lgkmcnt(0)
	v_add_f32_e32 v1, v1, v2
.LBB4_5:
	s_or_b64 exec, exec, s[2:3]
	s_load_dword s10, s[4:5], 0x30
	s_branch .LBB4_20
.LBB4_6:
                                        ; implicit-def: $vgpr1
	s_load_dword s10, s[4:5], 0x30
	s_cbranch_execz .LBB4_20
; %bb.7:
	s_sub_i32 s11, s12, s0
	v_mov_b32_e32 v1, 0
	v_cmp_gt_u32_e32 vcc, s11, v0
	v_mov_b32_e32 v2, v1
	v_mov_b32_e32 v3, v1
	v_mov_b32_e32 v4, v1
	s_and_saveexec_b64 s[0:1], vcc
	s_cbranch_execz .LBB4_9
; %bb.8:
	global_load_dword v7, v6, s[8:9]
	v_mov_b32_e32 v8, v1
	v_mov_b32_e32 v9, v1
	;; [unrolled: 1-line block ×3, first 2 shown]
	s_waitcnt vmcnt(0)
	v_mov_b32_e32 v1, v7
	v_mov_b32_e32 v2, v8
	;; [unrolled: 1-line block ×4, first 2 shown]
.LBB4_9:
	s_or_b64 exec, exec, s[0:1]
	v_or_b32_e32 v7, 0x100, v0
	v_cmp_gt_u32_e32 vcc, s11, v7
	s_and_saveexec_b64 s[0:1], vcc
	s_cbranch_execz .LBB4_11
; %bb.10:
	global_load_dword v2, v6, s[8:9] offset:1024
.LBB4_11:
	s_or_b64 exec, exec, s[0:1]
	v_or_b32_e32 v7, 0x200, v0
	v_cmp_gt_u32_e64 s[0:1], s11, v7
	s_and_saveexec_b64 s[2:3], s[0:1]
	s_cbranch_execz .LBB4_13
; %bb.12:
	global_load_dword v3, v6, s[8:9] offset:2048
.LBB4_13:
	s_or_b64 exec, exec, s[2:3]
	v_or_b32_e32 v7, 0x300, v0
	v_cmp_gt_u32_e64 s[2:3], s11, v7
	s_and_saveexec_b64 s[4:5], s[2:3]
	s_cbranch_execz .LBB4_15
; %bb.14:
	global_load_dword v4, v6, s[8:9] offset:3072
.LBB4_15:
	s_or_b64 exec, exec, s[4:5]
	s_waitcnt vmcnt(0)
	v_add_f32_e32 v2, v1, v2
	v_cndmask_b32_e32 v1, v1, v2, vcc
	v_add_f32_e32 v2, v3, v1
	v_cndmask_b32_e64 v1, v1, v2, s[0:1]
	v_add_f32_e32 v2, v4, v1
	v_cndmask_b32_e64 v1, v1, v2, s[2:3]
	v_mbcnt_hi_u32_b32 v2, -1, v5
	v_and_b32_e32 v4, 63, v2
	v_cmp_ne_u32_e32 vcc, 63, v4
	v_addc_co_u32_e32 v3, vcc, 0, v2, vcc
	v_lshlrev_b32_e32 v3, 2, v3
	ds_bpermute_b32 v3, v3, v1
	s_min_u32 s4, s11, 0x100
	v_and_b32_e32 v5, 0xc0, v0
	v_sub_u32_e64 v5, s4, v5 clamp
	v_add_u32_e32 v6, 1, v4
	v_cmp_gt_u32_e64 s[0:1], 62, v4
	s_waitcnt lgkmcnt(0)
	v_add_f32_e32 v3, v1, v3
	v_cmp_lt_u32_e32 vcc, v6, v5
	v_cndmask_b32_e64 v6, 0, 2, s[0:1]
	v_cndmask_b32_e32 v3, v1, v3, vcc
	v_add_lshl_u32 v6, v6, v2, 2
	ds_bpermute_b32 v6, v6, v3
	v_add_u32_e32 v7, 2, v4
	v_cmp_lt_u32_e64 s[0:1], v7, v5
	v_add_u32_e32 v7, 4, v4
	s_waitcnt lgkmcnt(0)
	v_add_f32_e32 v6, v3, v6
	v_cndmask_b32_e64 v3, v3, v6, s[0:1]
	v_cmp_gt_u32_e64 s[0:1], 60, v4
	v_cndmask_b32_e64 v6, 0, 4, s[0:1]
	v_add_lshl_u32 v6, v6, v2, 2
	ds_bpermute_b32 v6, v6, v3
	v_cmp_lt_u32_e64 s[0:1], v7, v5
	v_add_u32_e32 v7, 8, v4
	s_waitcnt lgkmcnt(0)
	v_add_f32_e32 v6, v3, v6
	v_cndmask_b32_e64 v3, v3, v6, s[0:1]
	v_cmp_gt_u32_e64 s[0:1], 56, v4
	v_cndmask_b32_e64 v6, 0, 8, s[0:1]
	v_add_lshl_u32 v6, v6, v2, 2
	ds_bpermute_b32 v6, v6, v3
	;; [unrolled: 9-line block ×3, first 2 shown]
	v_cmp_lt_u32_e64 s[0:1], v7, v5
	v_add_u32_e32 v4, 32, v4
	s_waitcnt lgkmcnt(0)
	v_add_f32_e32 v6, v3, v6
	v_cndmask_b32_e64 v6, v3, v6, s[0:1]
	v_lshlrev_b32_e32 v3, 2, v2
	v_or_b32_e32 v7, 0x80, v3
	ds_bpermute_b32 v7, v7, v6
	v_cmp_lt_u32_e64 s[0:1], v4, v5
	s_waitcnt lgkmcnt(0)
	v_add_f32_e32 v7, v6, v7
	v_cndmask_b32_e64 v4, v6, v7, s[0:1]
	v_cndmask_b32_e32 v1, v1, v4, vcc
	v_cmp_eq_u32_e32 vcc, 0, v2
	s_and_saveexec_b64 s[0:1], vcc
; %bb.16:
	v_lshrrev_b32_e32 v4, 4, v0
	v_and_b32_e32 v4, 12, v4
	ds_write_b32 v4, v1 offset:16
; %bb.17:
	s_or_b64 exec, exec, s[0:1]
	v_cmp_gt_u32_e32 vcc, 4, v0
	s_waitcnt lgkmcnt(0)
	s_barrier
	s_and_saveexec_b64 s[2:3], vcc
	s_cbranch_execz .LBB4_19
; %bb.18:
	ds_read_b32 v1, v3 offset:16
	v_and_b32_e32 v4, 3, v2
	v_cmp_ne_u32_e32 vcc, 3, v4
	v_addc_co_u32_e32 v2, vcc, 0, v2, vcc
	v_lshlrev_b32_e32 v2, 2, v2
	s_waitcnt lgkmcnt(0)
	ds_bpermute_b32 v2, v2, v1
	s_add_i32 s4, s4, 63
	s_lshr_b32 s0, s4, 6
	v_add_u32_e32 v5, 1, v4
	v_cmp_gt_u32_e32 vcc, s0, v5
	s_waitcnt lgkmcnt(0)
	v_add_f32_e32 v2, v1, v2
	v_cndmask_b32_e32 v2, v1, v2, vcc
	v_or_b32_e32 v3, 8, v3
	ds_bpermute_b32 v3, v3, v2
	v_add_u32_e32 v4, 2, v4
	v_cmp_gt_u32_e64 s[0:1], s0, v4
	s_waitcnt lgkmcnt(0)
	v_add_f32_e32 v3, v2, v3
	v_cndmask_b32_e64 v2, v2, v3, s[0:1]
	v_cndmask_b32_e32 v1, v1, v2, vcc
.LBB4_19:
	s_or_b64 exec, exec, s[2:3]
.LBB4_20:
	v_cmp_eq_u32_e32 vcc, 0, v0
	s_and_saveexec_b64 s[0:1], vcc
	s_cbranch_execnz .LBB4_22
; %bb.21:
	s_endpgm
.LBB4_22:
	s_mul_i32 s0, s18, s17
	s_mul_hi_u32 s1, s18, s16
	s_add_i32 s0, s1, s0
	s_mul_i32 s1, s19, s16
	s_add_i32 s1, s0, s1
	s_mul_i32 s0, s18, s16
	s_lshl_b64 s[0:1], s[0:1], 2
	s_add_u32 s2, s14, s0
	s_addc_u32 s3, s15, s1
	s_cmp_eq_u64 s[12:13], 0
	s_cselect_b64 vcc, -1, 0
	s_lshl_b64 s[0:1], s[6:7], 2
	s_waitcnt lgkmcnt(0)
	v_mov_b32_e32 v0, s10
	s_add_u32 s0, s2, s0
	v_cndmask_b32_e32 v0, v1, v0, vcc
	s_addc_u32 s1, s3, s1
	v_mov_b32_e32 v1, 0
	global_store_dword v1, v0, s[0:1]
	s_endpgm
	.section	.rodata,"a",@progbits
	.p2align	6, 0x0
	.amdhsa_kernel _ZN7rocprim17ROCPRIM_400000_NS6detail17trampoline_kernelINS0_14default_configENS1_22reduce_config_selectorIfEEZNS1_11reduce_implILb1ES3_PfS7_fN6thrust23THRUST_200600_302600_NS4plusIfEEEE10hipError_tPvRmT1_T2_T3_mT4_P12ihipStream_tbEUlT_E0_NS1_11comp_targetILNS1_3genE2ELNS1_11target_archE906ELNS1_3gpuE6ELNS1_3repE0EEENS1_30default_config_static_selectorELNS0_4arch9wavefront6targetE1EEEvSF_
		.amdhsa_group_segment_fixed_size 32
		.amdhsa_private_segment_fixed_size 0
		.amdhsa_kernarg_size 56
		.amdhsa_user_sgpr_count 6
		.amdhsa_user_sgpr_private_segment_buffer 1
		.amdhsa_user_sgpr_dispatch_ptr 0
		.amdhsa_user_sgpr_queue_ptr 0
		.amdhsa_user_sgpr_kernarg_segment_ptr 1
		.amdhsa_user_sgpr_dispatch_id 0
		.amdhsa_user_sgpr_flat_scratch_init 0
		.amdhsa_user_sgpr_private_segment_size 0
		.amdhsa_uses_dynamic_stack 0
		.amdhsa_system_sgpr_private_segment_wavefront_offset 0
		.amdhsa_system_sgpr_workgroup_id_x 1
		.amdhsa_system_sgpr_workgroup_id_y 0
		.amdhsa_system_sgpr_workgroup_id_z 0
		.amdhsa_system_sgpr_workgroup_info 0
		.amdhsa_system_vgpr_workitem_id 0
		.amdhsa_next_free_vgpr 11
		.amdhsa_next_free_sgpr 20
		.amdhsa_reserve_vcc 1
		.amdhsa_reserve_flat_scratch 0
		.amdhsa_float_round_mode_32 0
		.amdhsa_float_round_mode_16_64 0
		.amdhsa_float_denorm_mode_32 3
		.amdhsa_float_denorm_mode_16_64 3
		.amdhsa_dx10_clamp 1
		.amdhsa_ieee_mode 1
		.amdhsa_fp16_overflow 0
		.amdhsa_exception_fp_ieee_invalid_op 0
		.amdhsa_exception_fp_denorm_src 0
		.amdhsa_exception_fp_ieee_div_zero 0
		.amdhsa_exception_fp_ieee_overflow 0
		.amdhsa_exception_fp_ieee_underflow 0
		.amdhsa_exception_fp_ieee_inexact 0
		.amdhsa_exception_int_div_zero 0
	.end_amdhsa_kernel
	.section	.text._ZN7rocprim17ROCPRIM_400000_NS6detail17trampoline_kernelINS0_14default_configENS1_22reduce_config_selectorIfEEZNS1_11reduce_implILb1ES3_PfS7_fN6thrust23THRUST_200600_302600_NS4plusIfEEEE10hipError_tPvRmT1_T2_T3_mT4_P12ihipStream_tbEUlT_E0_NS1_11comp_targetILNS1_3genE2ELNS1_11target_archE906ELNS1_3gpuE6ELNS1_3repE0EEENS1_30default_config_static_selectorELNS0_4arch9wavefront6targetE1EEEvSF_,"axG",@progbits,_ZN7rocprim17ROCPRIM_400000_NS6detail17trampoline_kernelINS0_14default_configENS1_22reduce_config_selectorIfEEZNS1_11reduce_implILb1ES3_PfS7_fN6thrust23THRUST_200600_302600_NS4plusIfEEEE10hipError_tPvRmT1_T2_T3_mT4_P12ihipStream_tbEUlT_E0_NS1_11comp_targetILNS1_3genE2ELNS1_11target_archE906ELNS1_3gpuE6ELNS1_3repE0EEENS1_30default_config_static_selectorELNS0_4arch9wavefront6targetE1EEEvSF_,comdat
.Lfunc_end4:
	.size	_ZN7rocprim17ROCPRIM_400000_NS6detail17trampoline_kernelINS0_14default_configENS1_22reduce_config_selectorIfEEZNS1_11reduce_implILb1ES3_PfS7_fN6thrust23THRUST_200600_302600_NS4plusIfEEEE10hipError_tPvRmT1_T2_T3_mT4_P12ihipStream_tbEUlT_E0_NS1_11comp_targetILNS1_3genE2ELNS1_11target_archE906ELNS1_3gpuE6ELNS1_3repE0EEENS1_30default_config_static_selectorELNS0_4arch9wavefront6targetE1EEEvSF_, .Lfunc_end4-_ZN7rocprim17ROCPRIM_400000_NS6detail17trampoline_kernelINS0_14default_configENS1_22reduce_config_selectorIfEEZNS1_11reduce_implILb1ES3_PfS7_fN6thrust23THRUST_200600_302600_NS4plusIfEEEE10hipError_tPvRmT1_T2_T3_mT4_P12ihipStream_tbEUlT_E0_NS1_11comp_targetILNS1_3genE2ELNS1_11target_archE906ELNS1_3gpuE6ELNS1_3repE0EEENS1_30default_config_static_selectorELNS0_4arch9wavefront6targetE1EEEvSF_
                                        ; -- End function
	.set _ZN7rocprim17ROCPRIM_400000_NS6detail17trampoline_kernelINS0_14default_configENS1_22reduce_config_selectorIfEEZNS1_11reduce_implILb1ES3_PfS7_fN6thrust23THRUST_200600_302600_NS4plusIfEEEE10hipError_tPvRmT1_T2_T3_mT4_P12ihipStream_tbEUlT_E0_NS1_11comp_targetILNS1_3genE2ELNS1_11target_archE906ELNS1_3gpuE6ELNS1_3repE0EEENS1_30default_config_static_selectorELNS0_4arch9wavefront6targetE1EEEvSF_.num_vgpr, 11
	.set _ZN7rocprim17ROCPRIM_400000_NS6detail17trampoline_kernelINS0_14default_configENS1_22reduce_config_selectorIfEEZNS1_11reduce_implILb1ES3_PfS7_fN6thrust23THRUST_200600_302600_NS4plusIfEEEE10hipError_tPvRmT1_T2_T3_mT4_P12ihipStream_tbEUlT_E0_NS1_11comp_targetILNS1_3genE2ELNS1_11target_archE906ELNS1_3gpuE6ELNS1_3repE0EEENS1_30default_config_static_selectorELNS0_4arch9wavefront6targetE1EEEvSF_.num_agpr, 0
	.set _ZN7rocprim17ROCPRIM_400000_NS6detail17trampoline_kernelINS0_14default_configENS1_22reduce_config_selectorIfEEZNS1_11reduce_implILb1ES3_PfS7_fN6thrust23THRUST_200600_302600_NS4plusIfEEEE10hipError_tPvRmT1_T2_T3_mT4_P12ihipStream_tbEUlT_E0_NS1_11comp_targetILNS1_3genE2ELNS1_11target_archE906ELNS1_3gpuE6ELNS1_3repE0EEENS1_30default_config_static_selectorELNS0_4arch9wavefront6targetE1EEEvSF_.numbered_sgpr, 20
	.set _ZN7rocprim17ROCPRIM_400000_NS6detail17trampoline_kernelINS0_14default_configENS1_22reduce_config_selectorIfEEZNS1_11reduce_implILb1ES3_PfS7_fN6thrust23THRUST_200600_302600_NS4plusIfEEEE10hipError_tPvRmT1_T2_T3_mT4_P12ihipStream_tbEUlT_E0_NS1_11comp_targetILNS1_3genE2ELNS1_11target_archE906ELNS1_3gpuE6ELNS1_3repE0EEENS1_30default_config_static_selectorELNS0_4arch9wavefront6targetE1EEEvSF_.num_named_barrier, 0
	.set _ZN7rocprim17ROCPRIM_400000_NS6detail17trampoline_kernelINS0_14default_configENS1_22reduce_config_selectorIfEEZNS1_11reduce_implILb1ES3_PfS7_fN6thrust23THRUST_200600_302600_NS4plusIfEEEE10hipError_tPvRmT1_T2_T3_mT4_P12ihipStream_tbEUlT_E0_NS1_11comp_targetILNS1_3genE2ELNS1_11target_archE906ELNS1_3gpuE6ELNS1_3repE0EEENS1_30default_config_static_selectorELNS0_4arch9wavefront6targetE1EEEvSF_.private_seg_size, 0
	.set _ZN7rocprim17ROCPRIM_400000_NS6detail17trampoline_kernelINS0_14default_configENS1_22reduce_config_selectorIfEEZNS1_11reduce_implILb1ES3_PfS7_fN6thrust23THRUST_200600_302600_NS4plusIfEEEE10hipError_tPvRmT1_T2_T3_mT4_P12ihipStream_tbEUlT_E0_NS1_11comp_targetILNS1_3genE2ELNS1_11target_archE906ELNS1_3gpuE6ELNS1_3repE0EEENS1_30default_config_static_selectorELNS0_4arch9wavefront6targetE1EEEvSF_.uses_vcc, 1
	.set _ZN7rocprim17ROCPRIM_400000_NS6detail17trampoline_kernelINS0_14default_configENS1_22reduce_config_selectorIfEEZNS1_11reduce_implILb1ES3_PfS7_fN6thrust23THRUST_200600_302600_NS4plusIfEEEE10hipError_tPvRmT1_T2_T3_mT4_P12ihipStream_tbEUlT_E0_NS1_11comp_targetILNS1_3genE2ELNS1_11target_archE906ELNS1_3gpuE6ELNS1_3repE0EEENS1_30default_config_static_selectorELNS0_4arch9wavefront6targetE1EEEvSF_.uses_flat_scratch, 0
	.set _ZN7rocprim17ROCPRIM_400000_NS6detail17trampoline_kernelINS0_14default_configENS1_22reduce_config_selectorIfEEZNS1_11reduce_implILb1ES3_PfS7_fN6thrust23THRUST_200600_302600_NS4plusIfEEEE10hipError_tPvRmT1_T2_T3_mT4_P12ihipStream_tbEUlT_E0_NS1_11comp_targetILNS1_3genE2ELNS1_11target_archE906ELNS1_3gpuE6ELNS1_3repE0EEENS1_30default_config_static_selectorELNS0_4arch9wavefront6targetE1EEEvSF_.has_dyn_sized_stack, 0
	.set _ZN7rocprim17ROCPRIM_400000_NS6detail17trampoline_kernelINS0_14default_configENS1_22reduce_config_selectorIfEEZNS1_11reduce_implILb1ES3_PfS7_fN6thrust23THRUST_200600_302600_NS4plusIfEEEE10hipError_tPvRmT1_T2_T3_mT4_P12ihipStream_tbEUlT_E0_NS1_11comp_targetILNS1_3genE2ELNS1_11target_archE906ELNS1_3gpuE6ELNS1_3repE0EEENS1_30default_config_static_selectorELNS0_4arch9wavefront6targetE1EEEvSF_.has_recursion, 0
	.set _ZN7rocprim17ROCPRIM_400000_NS6detail17trampoline_kernelINS0_14default_configENS1_22reduce_config_selectorIfEEZNS1_11reduce_implILb1ES3_PfS7_fN6thrust23THRUST_200600_302600_NS4plusIfEEEE10hipError_tPvRmT1_T2_T3_mT4_P12ihipStream_tbEUlT_E0_NS1_11comp_targetILNS1_3genE2ELNS1_11target_archE906ELNS1_3gpuE6ELNS1_3repE0EEENS1_30default_config_static_selectorELNS0_4arch9wavefront6targetE1EEEvSF_.has_indirect_call, 0
	.section	.AMDGPU.csdata,"",@progbits
; Kernel info:
; codeLenInByte = 1232
; TotalNumSgprs: 24
; NumVgprs: 11
; ScratchSize: 0
; MemoryBound: 0
; FloatMode: 240
; IeeeMode: 1
; LDSByteSize: 32 bytes/workgroup (compile time only)
; SGPRBlocks: 2
; VGPRBlocks: 2
; NumSGPRsForWavesPerEU: 24
; NumVGPRsForWavesPerEU: 11
; Occupancy: 10
; WaveLimiterHint : 1
; COMPUTE_PGM_RSRC2:SCRATCH_EN: 0
; COMPUTE_PGM_RSRC2:USER_SGPR: 6
; COMPUTE_PGM_RSRC2:TRAP_HANDLER: 0
; COMPUTE_PGM_RSRC2:TGID_X_EN: 1
; COMPUTE_PGM_RSRC2:TGID_Y_EN: 0
; COMPUTE_PGM_RSRC2:TGID_Z_EN: 0
; COMPUTE_PGM_RSRC2:TIDIG_COMP_CNT: 0
	.section	.text._ZN7rocprim17ROCPRIM_400000_NS6detail17trampoline_kernelINS0_14default_configENS1_22reduce_config_selectorIfEEZNS1_11reduce_implILb1ES3_PfS7_fN6thrust23THRUST_200600_302600_NS4plusIfEEEE10hipError_tPvRmT1_T2_T3_mT4_P12ihipStream_tbEUlT_E0_NS1_11comp_targetILNS1_3genE10ELNS1_11target_archE1201ELNS1_3gpuE5ELNS1_3repE0EEENS1_30default_config_static_selectorELNS0_4arch9wavefront6targetE1EEEvSF_,"axG",@progbits,_ZN7rocprim17ROCPRIM_400000_NS6detail17trampoline_kernelINS0_14default_configENS1_22reduce_config_selectorIfEEZNS1_11reduce_implILb1ES3_PfS7_fN6thrust23THRUST_200600_302600_NS4plusIfEEEE10hipError_tPvRmT1_T2_T3_mT4_P12ihipStream_tbEUlT_E0_NS1_11comp_targetILNS1_3genE10ELNS1_11target_archE1201ELNS1_3gpuE5ELNS1_3repE0EEENS1_30default_config_static_selectorELNS0_4arch9wavefront6targetE1EEEvSF_,comdat
	.protected	_ZN7rocprim17ROCPRIM_400000_NS6detail17trampoline_kernelINS0_14default_configENS1_22reduce_config_selectorIfEEZNS1_11reduce_implILb1ES3_PfS7_fN6thrust23THRUST_200600_302600_NS4plusIfEEEE10hipError_tPvRmT1_T2_T3_mT4_P12ihipStream_tbEUlT_E0_NS1_11comp_targetILNS1_3genE10ELNS1_11target_archE1201ELNS1_3gpuE5ELNS1_3repE0EEENS1_30default_config_static_selectorELNS0_4arch9wavefront6targetE1EEEvSF_ ; -- Begin function _ZN7rocprim17ROCPRIM_400000_NS6detail17trampoline_kernelINS0_14default_configENS1_22reduce_config_selectorIfEEZNS1_11reduce_implILb1ES3_PfS7_fN6thrust23THRUST_200600_302600_NS4plusIfEEEE10hipError_tPvRmT1_T2_T3_mT4_P12ihipStream_tbEUlT_E0_NS1_11comp_targetILNS1_3genE10ELNS1_11target_archE1201ELNS1_3gpuE5ELNS1_3repE0EEENS1_30default_config_static_selectorELNS0_4arch9wavefront6targetE1EEEvSF_
	.globl	_ZN7rocprim17ROCPRIM_400000_NS6detail17trampoline_kernelINS0_14default_configENS1_22reduce_config_selectorIfEEZNS1_11reduce_implILb1ES3_PfS7_fN6thrust23THRUST_200600_302600_NS4plusIfEEEE10hipError_tPvRmT1_T2_T3_mT4_P12ihipStream_tbEUlT_E0_NS1_11comp_targetILNS1_3genE10ELNS1_11target_archE1201ELNS1_3gpuE5ELNS1_3repE0EEENS1_30default_config_static_selectorELNS0_4arch9wavefront6targetE1EEEvSF_
	.p2align	8
	.type	_ZN7rocprim17ROCPRIM_400000_NS6detail17trampoline_kernelINS0_14default_configENS1_22reduce_config_selectorIfEEZNS1_11reduce_implILb1ES3_PfS7_fN6thrust23THRUST_200600_302600_NS4plusIfEEEE10hipError_tPvRmT1_T2_T3_mT4_P12ihipStream_tbEUlT_E0_NS1_11comp_targetILNS1_3genE10ELNS1_11target_archE1201ELNS1_3gpuE5ELNS1_3repE0EEENS1_30default_config_static_selectorELNS0_4arch9wavefront6targetE1EEEvSF_,@function
_ZN7rocprim17ROCPRIM_400000_NS6detail17trampoline_kernelINS0_14default_configENS1_22reduce_config_selectorIfEEZNS1_11reduce_implILb1ES3_PfS7_fN6thrust23THRUST_200600_302600_NS4plusIfEEEE10hipError_tPvRmT1_T2_T3_mT4_P12ihipStream_tbEUlT_E0_NS1_11comp_targetILNS1_3genE10ELNS1_11target_archE1201ELNS1_3gpuE5ELNS1_3repE0EEENS1_30default_config_static_selectorELNS0_4arch9wavefront6targetE1EEEvSF_: ; @_ZN7rocprim17ROCPRIM_400000_NS6detail17trampoline_kernelINS0_14default_configENS1_22reduce_config_selectorIfEEZNS1_11reduce_implILb1ES3_PfS7_fN6thrust23THRUST_200600_302600_NS4plusIfEEEE10hipError_tPvRmT1_T2_T3_mT4_P12ihipStream_tbEUlT_E0_NS1_11comp_targetILNS1_3genE10ELNS1_11target_archE1201ELNS1_3gpuE5ELNS1_3repE0EEENS1_30default_config_static_selectorELNS0_4arch9wavefront6targetE1EEEvSF_
; %bb.0:
	.section	.rodata,"a",@progbits
	.p2align	6, 0x0
	.amdhsa_kernel _ZN7rocprim17ROCPRIM_400000_NS6detail17trampoline_kernelINS0_14default_configENS1_22reduce_config_selectorIfEEZNS1_11reduce_implILb1ES3_PfS7_fN6thrust23THRUST_200600_302600_NS4plusIfEEEE10hipError_tPvRmT1_T2_T3_mT4_P12ihipStream_tbEUlT_E0_NS1_11comp_targetILNS1_3genE10ELNS1_11target_archE1201ELNS1_3gpuE5ELNS1_3repE0EEENS1_30default_config_static_selectorELNS0_4arch9wavefront6targetE1EEEvSF_
		.amdhsa_group_segment_fixed_size 0
		.amdhsa_private_segment_fixed_size 0
		.amdhsa_kernarg_size 56
		.amdhsa_user_sgpr_count 6
		.amdhsa_user_sgpr_private_segment_buffer 1
		.amdhsa_user_sgpr_dispatch_ptr 0
		.amdhsa_user_sgpr_queue_ptr 0
		.amdhsa_user_sgpr_kernarg_segment_ptr 1
		.amdhsa_user_sgpr_dispatch_id 0
		.amdhsa_user_sgpr_flat_scratch_init 0
		.amdhsa_user_sgpr_private_segment_size 0
		.amdhsa_uses_dynamic_stack 0
		.amdhsa_system_sgpr_private_segment_wavefront_offset 0
		.amdhsa_system_sgpr_workgroup_id_x 1
		.amdhsa_system_sgpr_workgroup_id_y 0
		.amdhsa_system_sgpr_workgroup_id_z 0
		.amdhsa_system_sgpr_workgroup_info 0
		.amdhsa_system_vgpr_workitem_id 0
		.amdhsa_next_free_vgpr 1
		.amdhsa_next_free_sgpr 0
		.amdhsa_reserve_vcc 0
		.amdhsa_reserve_flat_scratch 0
		.amdhsa_float_round_mode_32 0
		.amdhsa_float_round_mode_16_64 0
		.amdhsa_float_denorm_mode_32 3
		.amdhsa_float_denorm_mode_16_64 3
		.amdhsa_dx10_clamp 1
		.amdhsa_ieee_mode 1
		.amdhsa_fp16_overflow 0
		.amdhsa_exception_fp_ieee_invalid_op 0
		.amdhsa_exception_fp_denorm_src 0
		.amdhsa_exception_fp_ieee_div_zero 0
		.amdhsa_exception_fp_ieee_overflow 0
		.amdhsa_exception_fp_ieee_underflow 0
		.amdhsa_exception_fp_ieee_inexact 0
		.amdhsa_exception_int_div_zero 0
	.end_amdhsa_kernel
	.section	.text._ZN7rocprim17ROCPRIM_400000_NS6detail17trampoline_kernelINS0_14default_configENS1_22reduce_config_selectorIfEEZNS1_11reduce_implILb1ES3_PfS7_fN6thrust23THRUST_200600_302600_NS4plusIfEEEE10hipError_tPvRmT1_T2_T3_mT4_P12ihipStream_tbEUlT_E0_NS1_11comp_targetILNS1_3genE10ELNS1_11target_archE1201ELNS1_3gpuE5ELNS1_3repE0EEENS1_30default_config_static_selectorELNS0_4arch9wavefront6targetE1EEEvSF_,"axG",@progbits,_ZN7rocprim17ROCPRIM_400000_NS6detail17trampoline_kernelINS0_14default_configENS1_22reduce_config_selectorIfEEZNS1_11reduce_implILb1ES3_PfS7_fN6thrust23THRUST_200600_302600_NS4plusIfEEEE10hipError_tPvRmT1_T2_T3_mT4_P12ihipStream_tbEUlT_E0_NS1_11comp_targetILNS1_3genE10ELNS1_11target_archE1201ELNS1_3gpuE5ELNS1_3repE0EEENS1_30default_config_static_selectorELNS0_4arch9wavefront6targetE1EEEvSF_,comdat
.Lfunc_end5:
	.size	_ZN7rocprim17ROCPRIM_400000_NS6detail17trampoline_kernelINS0_14default_configENS1_22reduce_config_selectorIfEEZNS1_11reduce_implILb1ES3_PfS7_fN6thrust23THRUST_200600_302600_NS4plusIfEEEE10hipError_tPvRmT1_T2_T3_mT4_P12ihipStream_tbEUlT_E0_NS1_11comp_targetILNS1_3genE10ELNS1_11target_archE1201ELNS1_3gpuE5ELNS1_3repE0EEENS1_30default_config_static_selectorELNS0_4arch9wavefront6targetE1EEEvSF_, .Lfunc_end5-_ZN7rocprim17ROCPRIM_400000_NS6detail17trampoline_kernelINS0_14default_configENS1_22reduce_config_selectorIfEEZNS1_11reduce_implILb1ES3_PfS7_fN6thrust23THRUST_200600_302600_NS4plusIfEEEE10hipError_tPvRmT1_T2_T3_mT4_P12ihipStream_tbEUlT_E0_NS1_11comp_targetILNS1_3genE10ELNS1_11target_archE1201ELNS1_3gpuE5ELNS1_3repE0EEENS1_30default_config_static_selectorELNS0_4arch9wavefront6targetE1EEEvSF_
                                        ; -- End function
	.set _ZN7rocprim17ROCPRIM_400000_NS6detail17trampoline_kernelINS0_14default_configENS1_22reduce_config_selectorIfEEZNS1_11reduce_implILb1ES3_PfS7_fN6thrust23THRUST_200600_302600_NS4plusIfEEEE10hipError_tPvRmT1_T2_T3_mT4_P12ihipStream_tbEUlT_E0_NS1_11comp_targetILNS1_3genE10ELNS1_11target_archE1201ELNS1_3gpuE5ELNS1_3repE0EEENS1_30default_config_static_selectorELNS0_4arch9wavefront6targetE1EEEvSF_.num_vgpr, 0
	.set _ZN7rocprim17ROCPRIM_400000_NS6detail17trampoline_kernelINS0_14default_configENS1_22reduce_config_selectorIfEEZNS1_11reduce_implILb1ES3_PfS7_fN6thrust23THRUST_200600_302600_NS4plusIfEEEE10hipError_tPvRmT1_T2_T3_mT4_P12ihipStream_tbEUlT_E0_NS1_11comp_targetILNS1_3genE10ELNS1_11target_archE1201ELNS1_3gpuE5ELNS1_3repE0EEENS1_30default_config_static_selectorELNS0_4arch9wavefront6targetE1EEEvSF_.num_agpr, 0
	.set _ZN7rocprim17ROCPRIM_400000_NS6detail17trampoline_kernelINS0_14default_configENS1_22reduce_config_selectorIfEEZNS1_11reduce_implILb1ES3_PfS7_fN6thrust23THRUST_200600_302600_NS4plusIfEEEE10hipError_tPvRmT1_T2_T3_mT4_P12ihipStream_tbEUlT_E0_NS1_11comp_targetILNS1_3genE10ELNS1_11target_archE1201ELNS1_3gpuE5ELNS1_3repE0EEENS1_30default_config_static_selectorELNS0_4arch9wavefront6targetE1EEEvSF_.numbered_sgpr, 0
	.set _ZN7rocprim17ROCPRIM_400000_NS6detail17trampoline_kernelINS0_14default_configENS1_22reduce_config_selectorIfEEZNS1_11reduce_implILb1ES3_PfS7_fN6thrust23THRUST_200600_302600_NS4plusIfEEEE10hipError_tPvRmT1_T2_T3_mT4_P12ihipStream_tbEUlT_E0_NS1_11comp_targetILNS1_3genE10ELNS1_11target_archE1201ELNS1_3gpuE5ELNS1_3repE0EEENS1_30default_config_static_selectorELNS0_4arch9wavefront6targetE1EEEvSF_.num_named_barrier, 0
	.set _ZN7rocprim17ROCPRIM_400000_NS6detail17trampoline_kernelINS0_14default_configENS1_22reduce_config_selectorIfEEZNS1_11reduce_implILb1ES3_PfS7_fN6thrust23THRUST_200600_302600_NS4plusIfEEEE10hipError_tPvRmT1_T2_T3_mT4_P12ihipStream_tbEUlT_E0_NS1_11comp_targetILNS1_3genE10ELNS1_11target_archE1201ELNS1_3gpuE5ELNS1_3repE0EEENS1_30default_config_static_selectorELNS0_4arch9wavefront6targetE1EEEvSF_.private_seg_size, 0
	.set _ZN7rocprim17ROCPRIM_400000_NS6detail17trampoline_kernelINS0_14default_configENS1_22reduce_config_selectorIfEEZNS1_11reduce_implILb1ES3_PfS7_fN6thrust23THRUST_200600_302600_NS4plusIfEEEE10hipError_tPvRmT1_T2_T3_mT4_P12ihipStream_tbEUlT_E0_NS1_11comp_targetILNS1_3genE10ELNS1_11target_archE1201ELNS1_3gpuE5ELNS1_3repE0EEENS1_30default_config_static_selectorELNS0_4arch9wavefront6targetE1EEEvSF_.uses_vcc, 0
	.set _ZN7rocprim17ROCPRIM_400000_NS6detail17trampoline_kernelINS0_14default_configENS1_22reduce_config_selectorIfEEZNS1_11reduce_implILb1ES3_PfS7_fN6thrust23THRUST_200600_302600_NS4plusIfEEEE10hipError_tPvRmT1_T2_T3_mT4_P12ihipStream_tbEUlT_E0_NS1_11comp_targetILNS1_3genE10ELNS1_11target_archE1201ELNS1_3gpuE5ELNS1_3repE0EEENS1_30default_config_static_selectorELNS0_4arch9wavefront6targetE1EEEvSF_.uses_flat_scratch, 0
	.set _ZN7rocprim17ROCPRIM_400000_NS6detail17trampoline_kernelINS0_14default_configENS1_22reduce_config_selectorIfEEZNS1_11reduce_implILb1ES3_PfS7_fN6thrust23THRUST_200600_302600_NS4plusIfEEEE10hipError_tPvRmT1_T2_T3_mT4_P12ihipStream_tbEUlT_E0_NS1_11comp_targetILNS1_3genE10ELNS1_11target_archE1201ELNS1_3gpuE5ELNS1_3repE0EEENS1_30default_config_static_selectorELNS0_4arch9wavefront6targetE1EEEvSF_.has_dyn_sized_stack, 0
	.set _ZN7rocprim17ROCPRIM_400000_NS6detail17trampoline_kernelINS0_14default_configENS1_22reduce_config_selectorIfEEZNS1_11reduce_implILb1ES3_PfS7_fN6thrust23THRUST_200600_302600_NS4plusIfEEEE10hipError_tPvRmT1_T2_T3_mT4_P12ihipStream_tbEUlT_E0_NS1_11comp_targetILNS1_3genE10ELNS1_11target_archE1201ELNS1_3gpuE5ELNS1_3repE0EEENS1_30default_config_static_selectorELNS0_4arch9wavefront6targetE1EEEvSF_.has_recursion, 0
	.set _ZN7rocprim17ROCPRIM_400000_NS6detail17trampoline_kernelINS0_14default_configENS1_22reduce_config_selectorIfEEZNS1_11reduce_implILb1ES3_PfS7_fN6thrust23THRUST_200600_302600_NS4plusIfEEEE10hipError_tPvRmT1_T2_T3_mT4_P12ihipStream_tbEUlT_E0_NS1_11comp_targetILNS1_3genE10ELNS1_11target_archE1201ELNS1_3gpuE5ELNS1_3repE0EEENS1_30default_config_static_selectorELNS0_4arch9wavefront6targetE1EEEvSF_.has_indirect_call, 0
	.section	.AMDGPU.csdata,"",@progbits
; Kernel info:
; codeLenInByte = 0
; TotalNumSgprs: 4
; NumVgprs: 0
; ScratchSize: 0
; MemoryBound: 0
; FloatMode: 240
; IeeeMode: 1
; LDSByteSize: 0 bytes/workgroup (compile time only)
; SGPRBlocks: 0
; VGPRBlocks: 0
; NumSGPRsForWavesPerEU: 4
; NumVGPRsForWavesPerEU: 1
; Occupancy: 10
; WaveLimiterHint : 0
; COMPUTE_PGM_RSRC2:SCRATCH_EN: 0
; COMPUTE_PGM_RSRC2:USER_SGPR: 6
; COMPUTE_PGM_RSRC2:TRAP_HANDLER: 0
; COMPUTE_PGM_RSRC2:TGID_X_EN: 1
; COMPUTE_PGM_RSRC2:TGID_Y_EN: 0
; COMPUTE_PGM_RSRC2:TGID_Z_EN: 0
; COMPUTE_PGM_RSRC2:TIDIG_COMP_CNT: 0
	.section	.text._ZN7rocprim17ROCPRIM_400000_NS6detail17trampoline_kernelINS0_14default_configENS1_22reduce_config_selectorIfEEZNS1_11reduce_implILb1ES3_PfS7_fN6thrust23THRUST_200600_302600_NS4plusIfEEEE10hipError_tPvRmT1_T2_T3_mT4_P12ihipStream_tbEUlT_E0_NS1_11comp_targetILNS1_3genE10ELNS1_11target_archE1200ELNS1_3gpuE4ELNS1_3repE0EEENS1_30default_config_static_selectorELNS0_4arch9wavefront6targetE1EEEvSF_,"axG",@progbits,_ZN7rocprim17ROCPRIM_400000_NS6detail17trampoline_kernelINS0_14default_configENS1_22reduce_config_selectorIfEEZNS1_11reduce_implILb1ES3_PfS7_fN6thrust23THRUST_200600_302600_NS4plusIfEEEE10hipError_tPvRmT1_T2_T3_mT4_P12ihipStream_tbEUlT_E0_NS1_11comp_targetILNS1_3genE10ELNS1_11target_archE1200ELNS1_3gpuE4ELNS1_3repE0EEENS1_30default_config_static_selectorELNS0_4arch9wavefront6targetE1EEEvSF_,comdat
	.protected	_ZN7rocprim17ROCPRIM_400000_NS6detail17trampoline_kernelINS0_14default_configENS1_22reduce_config_selectorIfEEZNS1_11reduce_implILb1ES3_PfS7_fN6thrust23THRUST_200600_302600_NS4plusIfEEEE10hipError_tPvRmT1_T2_T3_mT4_P12ihipStream_tbEUlT_E0_NS1_11comp_targetILNS1_3genE10ELNS1_11target_archE1200ELNS1_3gpuE4ELNS1_3repE0EEENS1_30default_config_static_selectorELNS0_4arch9wavefront6targetE1EEEvSF_ ; -- Begin function _ZN7rocprim17ROCPRIM_400000_NS6detail17trampoline_kernelINS0_14default_configENS1_22reduce_config_selectorIfEEZNS1_11reduce_implILb1ES3_PfS7_fN6thrust23THRUST_200600_302600_NS4plusIfEEEE10hipError_tPvRmT1_T2_T3_mT4_P12ihipStream_tbEUlT_E0_NS1_11comp_targetILNS1_3genE10ELNS1_11target_archE1200ELNS1_3gpuE4ELNS1_3repE0EEENS1_30default_config_static_selectorELNS0_4arch9wavefront6targetE1EEEvSF_
	.globl	_ZN7rocprim17ROCPRIM_400000_NS6detail17trampoline_kernelINS0_14default_configENS1_22reduce_config_selectorIfEEZNS1_11reduce_implILb1ES3_PfS7_fN6thrust23THRUST_200600_302600_NS4plusIfEEEE10hipError_tPvRmT1_T2_T3_mT4_P12ihipStream_tbEUlT_E0_NS1_11comp_targetILNS1_3genE10ELNS1_11target_archE1200ELNS1_3gpuE4ELNS1_3repE0EEENS1_30default_config_static_selectorELNS0_4arch9wavefront6targetE1EEEvSF_
	.p2align	8
	.type	_ZN7rocprim17ROCPRIM_400000_NS6detail17trampoline_kernelINS0_14default_configENS1_22reduce_config_selectorIfEEZNS1_11reduce_implILb1ES3_PfS7_fN6thrust23THRUST_200600_302600_NS4plusIfEEEE10hipError_tPvRmT1_T2_T3_mT4_P12ihipStream_tbEUlT_E0_NS1_11comp_targetILNS1_3genE10ELNS1_11target_archE1200ELNS1_3gpuE4ELNS1_3repE0EEENS1_30default_config_static_selectorELNS0_4arch9wavefront6targetE1EEEvSF_,@function
_ZN7rocprim17ROCPRIM_400000_NS6detail17trampoline_kernelINS0_14default_configENS1_22reduce_config_selectorIfEEZNS1_11reduce_implILb1ES3_PfS7_fN6thrust23THRUST_200600_302600_NS4plusIfEEEE10hipError_tPvRmT1_T2_T3_mT4_P12ihipStream_tbEUlT_E0_NS1_11comp_targetILNS1_3genE10ELNS1_11target_archE1200ELNS1_3gpuE4ELNS1_3repE0EEENS1_30default_config_static_selectorELNS0_4arch9wavefront6targetE1EEEvSF_: ; @_ZN7rocprim17ROCPRIM_400000_NS6detail17trampoline_kernelINS0_14default_configENS1_22reduce_config_selectorIfEEZNS1_11reduce_implILb1ES3_PfS7_fN6thrust23THRUST_200600_302600_NS4plusIfEEEE10hipError_tPvRmT1_T2_T3_mT4_P12ihipStream_tbEUlT_E0_NS1_11comp_targetILNS1_3genE10ELNS1_11target_archE1200ELNS1_3gpuE4ELNS1_3repE0EEENS1_30default_config_static_selectorELNS0_4arch9wavefront6targetE1EEEvSF_
; %bb.0:
	.section	.rodata,"a",@progbits
	.p2align	6, 0x0
	.amdhsa_kernel _ZN7rocprim17ROCPRIM_400000_NS6detail17trampoline_kernelINS0_14default_configENS1_22reduce_config_selectorIfEEZNS1_11reduce_implILb1ES3_PfS7_fN6thrust23THRUST_200600_302600_NS4plusIfEEEE10hipError_tPvRmT1_T2_T3_mT4_P12ihipStream_tbEUlT_E0_NS1_11comp_targetILNS1_3genE10ELNS1_11target_archE1200ELNS1_3gpuE4ELNS1_3repE0EEENS1_30default_config_static_selectorELNS0_4arch9wavefront6targetE1EEEvSF_
		.amdhsa_group_segment_fixed_size 0
		.amdhsa_private_segment_fixed_size 0
		.amdhsa_kernarg_size 56
		.amdhsa_user_sgpr_count 6
		.amdhsa_user_sgpr_private_segment_buffer 1
		.amdhsa_user_sgpr_dispatch_ptr 0
		.amdhsa_user_sgpr_queue_ptr 0
		.amdhsa_user_sgpr_kernarg_segment_ptr 1
		.amdhsa_user_sgpr_dispatch_id 0
		.amdhsa_user_sgpr_flat_scratch_init 0
		.amdhsa_user_sgpr_private_segment_size 0
		.amdhsa_uses_dynamic_stack 0
		.amdhsa_system_sgpr_private_segment_wavefront_offset 0
		.amdhsa_system_sgpr_workgroup_id_x 1
		.amdhsa_system_sgpr_workgroup_id_y 0
		.amdhsa_system_sgpr_workgroup_id_z 0
		.amdhsa_system_sgpr_workgroup_info 0
		.amdhsa_system_vgpr_workitem_id 0
		.amdhsa_next_free_vgpr 1
		.amdhsa_next_free_sgpr 0
		.amdhsa_reserve_vcc 0
		.amdhsa_reserve_flat_scratch 0
		.amdhsa_float_round_mode_32 0
		.amdhsa_float_round_mode_16_64 0
		.amdhsa_float_denorm_mode_32 3
		.amdhsa_float_denorm_mode_16_64 3
		.amdhsa_dx10_clamp 1
		.amdhsa_ieee_mode 1
		.amdhsa_fp16_overflow 0
		.amdhsa_exception_fp_ieee_invalid_op 0
		.amdhsa_exception_fp_denorm_src 0
		.amdhsa_exception_fp_ieee_div_zero 0
		.amdhsa_exception_fp_ieee_overflow 0
		.amdhsa_exception_fp_ieee_underflow 0
		.amdhsa_exception_fp_ieee_inexact 0
		.amdhsa_exception_int_div_zero 0
	.end_amdhsa_kernel
	.section	.text._ZN7rocprim17ROCPRIM_400000_NS6detail17trampoline_kernelINS0_14default_configENS1_22reduce_config_selectorIfEEZNS1_11reduce_implILb1ES3_PfS7_fN6thrust23THRUST_200600_302600_NS4plusIfEEEE10hipError_tPvRmT1_T2_T3_mT4_P12ihipStream_tbEUlT_E0_NS1_11comp_targetILNS1_3genE10ELNS1_11target_archE1200ELNS1_3gpuE4ELNS1_3repE0EEENS1_30default_config_static_selectorELNS0_4arch9wavefront6targetE1EEEvSF_,"axG",@progbits,_ZN7rocprim17ROCPRIM_400000_NS6detail17trampoline_kernelINS0_14default_configENS1_22reduce_config_selectorIfEEZNS1_11reduce_implILb1ES3_PfS7_fN6thrust23THRUST_200600_302600_NS4plusIfEEEE10hipError_tPvRmT1_T2_T3_mT4_P12ihipStream_tbEUlT_E0_NS1_11comp_targetILNS1_3genE10ELNS1_11target_archE1200ELNS1_3gpuE4ELNS1_3repE0EEENS1_30default_config_static_selectorELNS0_4arch9wavefront6targetE1EEEvSF_,comdat
.Lfunc_end6:
	.size	_ZN7rocprim17ROCPRIM_400000_NS6detail17trampoline_kernelINS0_14default_configENS1_22reduce_config_selectorIfEEZNS1_11reduce_implILb1ES3_PfS7_fN6thrust23THRUST_200600_302600_NS4plusIfEEEE10hipError_tPvRmT1_T2_T3_mT4_P12ihipStream_tbEUlT_E0_NS1_11comp_targetILNS1_3genE10ELNS1_11target_archE1200ELNS1_3gpuE4ELNS1_3repE0EEENS1_30default_config_static_selectorELNS0_4arch9wavefront6targetE1EEEvSF_, .Lfunc_end6-_ZN7rocprim17ROCPRIM_400000_NS6detail17trampoline_kernelINS0_14default_configENS1_22reduce_config_selectorIfEEZNS1_11reduce_implILb1ES3_PfS7_fN6thrust23THRUST_200600_302600_NS4plusIfEEEE10hipError_tPvRmT1_T2_T3_mT4_P12ihipStream_tbEUlT_E0_NS1_11comp_targetILNS1_3genE10ELNS1_11target_archE1200ELNS1_3gpuE4ELNS1_3repE0EEENS1_30default_config_static_selectorELNS0_4arch9wavefront6targetE1EEEvSF_
                                        ; -- End function
	.set _ZN7rocprim17ROCPRIM_400000_NS6detail17trampoline_kernelINS0_14default_configENS1_22reduce_config_selectorIfEEZNS1_11reduce_implILb1ES3_PfS7_fN6thrust23THRUST_200600_302600_NS4plusIfEEEE10hipError_tPvRmT1_T2_T3_mT4_P12ihipStream_tbEUlT_E0_NS1_11comp_targetILNS1_3genE10ELNS1_11target_archE1200ELNS1_3gpuE4ELNS1_3repE0EEENS1_30default_config_static_selectorELNS0_4arch9wavefront6targetE1EEEvSF_.num_vgpr, 0
	.set _ZN7rocprim17ROCPRIM_400000_NS6detail17trampoline_kernelINS0_14default_configENS1_22reduce_config_selectorIfEEZNS1_11reduce_implILb1ES3_PfS7_fN6thrust23THRUST_200600_302600_NS4plusIfEEEE10hipError_tPvRmT1_T2_T3_mT4_P12ihipStream_tbEUlT_E0_NS1_11comp_targetILNS1_3genE10ELNS1_11target_archE1200ELNS1_3gpuE4ELNS1_3repE0EEENS1_30default_config_static_selectorELNS0_4arch9wavefront6targetE1EEEvSF_.num_agpr, 0
	.set _ZN7rocprim17ROCPRIM_400000_NS6detail17trampoline_kernelINS0_14default_configENS1_22reduce_config_selectorIfEEZNS1_11reduce_implILb1ES3_PfS7_fN6thrust23THRUST_200600_302600_NS4plusIfEEEE10hipError_tPvRmT1_T2_T3_mT4_P12ihipStream_tbEUlT_E0_NS1_11comp_targetILNS1_3genE10ELNS1_11target_archE1200ELNS1_3gpuE4ELNS1_3repE0EEENS1_30default_config_static_selectorELNS0_4arch9wavefront6targetE1EEEvSF_.numbered_sgpr, 0
	.set _ZN7rocprim17ROCPRIM_400000_NS6detail17trampoline_kernelINS0_14default_configENS1_22reduce_config_selectorIfEEZNS1_11reduce_implILb1ES3_PfS7_fN6thrust23THRUST_200600_302600_NS4plusIfEEEE10hipError_tPvRmT1_T2_T3_mT4_P12ihipStream_tbEUlT_E0_NS1_11comp_targetILNS1_3genE10ELNS1_11target_archE1200ELNS1_3gpuE4ELNS1_3repE0EEENS1_30default_config_static_selectorELNS0_4arch9wavefront6targetE1EEEvSF_.num_named_barrier, 0
	.set _ZN7rocprim17ROCPRIM_400000_NS6detail17trampoline_kernelINS0_14default_configENS1_22reduce_config_selectorIfEEZNS1_11reduce_implILb1ES3_PfS7_fN6thrust23THRUST_200600_302600_NS4plusIfEEEE10hipError_tPvRmT1_T2_T3_mT4_P12ihipStream_tbEUlT_E0_NS1_11comp_targetILNS1_3genE10ELNS1_11target_archE1200ELNS1_3gpuE4ELNS1_3repE0EEENS1_30default_config_static_selectorELNS0_4arch9wavefront6targetE1EEEvSF_.private_seg_size, 0
	.set _ZN7rocprim17ROCPRIM_400000_NS6detail17trampoline_kernelINS0_14default_configENS1_22reduce_config_selectorIfEEZNS1_11reduce_implILb1ES3_PfS7_fN6thrust23THRUST_200600_302600_NS4plusIfEEEE10hipError_tPvRmT1_T2_T3_mT4_P12ihipStream_tbEUlT_E0_NS1_11comp_targetILNS1_3genE10ELNS1_11target_archE1200ELNS1_3gpuE4ELNS1_3repE0EEENS1_30default_config_static_selectorELNS0_4arch9wavefront6targetE1EEEvSF_.uses_vcc, 0
	.set _ZN7rocprim17ROCPRIM_400000_NS6detail17trampoline_kernelINS0_14default_configENS1_22reduce_config_selectorIfEEZNS1_11reduce_implILb1ES3_PfS7_fN6thrust23THRUST_200600_302600_NS4plusIfEEEE10hipError_tPvRmT1_T2_T3_mT4_P12ihipStream_tbEUlT_E0_NS1_11comp_targetILNS1_3genE10ELNS1_11target_archE1200ELNS1_3gpuE4ELNS1_3repE0EEENS1_30default_config_static_selectorELNS0_4arch9wavefront6targetE1EEEvSF_.uses_flat_scratch, 0
	.set _ZN7rocprim17ROCPRIM_400000_NS6detail17trampoline_kernelINS0_14default_configENS1_22reduce_config_selectorIfEEZNS1_11reduce_implILb1ES3_PfS7_fN6thrust23THRUST_200600_302600_NS4plusIfEEEE10hipError_tPvRmT1_T2_T3_mT4_P12ihipStream_tbEUlT_E0_NS1_11comp_targetILNS1_3genE10ELNS1_11target_archE1200ELNS1_3gpuE4ELNS1_3repE0EEENS1_30default_config_static_selectorELNS0_4arch9wavefront6targetE1EEEvSF_.has_dyn_sized_stack, 0
	.set _ZN7rocprim17ROCPRIM_400000_NS6detail17trampoline_kernelINS0_14default_configENS1_22reduce_config_selectorIfEEZNS1_11reduce_implILb1ES3_PfS7_fN6thrust23THRUST_200600_302600_NS4plusIfEEEE10hipError_tPvRmT1_T2_T3_mT4_P12ihipStream_tbEUlT_E0_NS1_11comp_targetILNS1_3genE10ELNS1_11target_archE1200ELNS1_3gpuE4ELNS1_3repE0EEENS1_30default_config_static_selectorELNS0_4arch9wavefront6targetE1EEEvSF_.has_recursion, 0
	.set _ZN7rocprim17ROCPRIM_400000_NS6detail17trampoline_kernelINS0_14default_configENS1_22reduce_config_selectorIfEEZNS1_11reduce_implILb1ES3_PfS7_fN6thrust23THRUST_200600_302600_NS4plusIfEEEE10hipError_tPvRmT1_T2_T3_mT4_P12ihipStream_tbEUlT_E0_NS1_11comp_targetILNS1_3genE10ELNS1_11target_archE1200ELNS1_3gpuE4ELNS1_3repE0EEENS1_30default_config_static_selectorELNS0_4arch9wavefront6targetE1EEEvSF_.has_indirect_call, 0
	.section	.AMDGPU.csdata,"",@progbits
; Kernel info:
; codeLenInByte = 0
; TotalNumSgprs: 4
; NumVgprs: 0
; ScratchSize: 0
; MemoryBound: 0
; FloatMode: 240
; IeeeMode: 1
; LDSByteSize: 0 bytes/workgroup (compile time only)
; SGPRBlocks: 0
; VGPRBlocks: 0
; NumSGPRsForWavesPerEU: 4
; NumVGPRsForWavesPerEU: 1
; Occupancy: 10
; WaveLimiterHint : 0
; COMPUTE_PGM_RSRC2:SCRATCH_EN: 0
; COMPUTE_PGM_RSRC2:USER_SGPR: 6
; COMPUTE_PGM_RSRC2:TRAP_HANDLER: 0
; COMPUTE_PGM_RSRC2:TGID_X_EN: 1
; COMPUTE_PGM_RSRC2:TGID_Y_EN: 0
; COMPUTE_PGM_RSRC2:TGID_Z_EN: 0
; COMPUTE_PGM_RSRC2:TIDIG_COMP_CNT: 0
	.section	.text._ZN7rocprim17ROCPRIM_400000_NS6detail17trampoline_kernelINS0_14default_configENS1_22reduce_config_selectorIfEEZNS1_11reduce_implILb1ES3_PfS7_fN6thrust23THRUST_200600_302600_NS4plusIfEEEE10hipError_tPvRmT1_T2_T3_mT4_P12ihipStream_tbEUlT_E0_NS1_11comp_targetILNS1_3genE9ELNS1_11target_archE1100ELNS1_3gpuE3ELNS1_3repE0EEENS1_30default_config_static_selectorELNS0_4arch9wavefront6targetE1EEEvSF_,"axG",@progbits,_ZN7rocprim17ROCPRIM_400000_NS6detail17trampoline_kernelINS0_14default_configENS1_22reduce_config_selectorIfEEZNS1_11reduce_implILb1ES3_PfS7_fN6thrust23THRUST_200600_302600_NS4plusIfEEEE10hipError_tPvRmT1_T2_T3_mT4_P12ihipStream_tbEUlT_E0_NS1_11comp_targetILNS1_3genE9ELNS1_11target_archE1100ELNS1_3gpuE3ELNS1_3repE0EEENS1_30default_config_static_selectorELNS0_4arch9wavefront6targetE1EEEvSF_,comdat
	.protected	_ZN7rocprim17ROCPRIM_400000_NS6detail17trampoline_kernelINS0_14default_configENS1_22reduce_config_selectorIfEEZNS1_11reduce_implILb1ES3_PfS7_fN6thrust23THRUST_200600_302600_NS4plusIfEEEE10hipError_tPvRmT1_T2_T3_mT4_P12ihipStream_tbEUlT_E0_NS1_11comp_targetILNS1_3genE9ELNS1_11target_archE1100ELNS1_3gpuE3ELNS1_3repE0EEENS1_30default_config_static_selectorELNS0_4arch9wavefront6targetE1EEEvSF_ ; -- Begin function _ZN7rocprim17ROCPRIM_400000_NS6detail17trampoline_kernelINS0_14default_configENS1_22reduce_config_selectorIfEEZNS1_11reduce_implILb1ES3_PfS7_fN6thrust23THRUST_200600_302600_NS4plusIfEEEE10hipError_tPvRmT1_T2_T3_mT4_P12ihipStream_tbEUlT_E0_NS1_11comp_targetILNS1_3genE9ELNS1_11target_archE1100ELNS1_3gpuE3ELNS1_3repE0EEENS1_30default_config_static_selectorELNS0_4arch9wavefront6targetE1EEEvSF_
	.globl	_ZN7rocprim17ROCPRIM_400000_NS6detail17trampoline_kernelINS0_14default_configENS1_22reduce_config_selectorIfEEZNS1_11reduce_implILb1ES3_PfS7_fN6thrust23THRUST_200600_302600_NS4plusIfEEEE10hipError_tPvRmT1_T2_T3_mT4_P12ihipStream_tbEUlT_E0_NS1_11comp_targetILNS1_3genE9ELNS1_11target_archE1100ELNS1_3gpuE3ELNS1_3repE0EEENS1_30default_config_static_selectorELNS0_4arch9wavefront6targetE1EEEvSF_
	.p2align	8
	.type	_ZN7rocprim17ROCPRIM_400000_NS6detail17trampoline_kernelINS0_14default_configENS1_22reduce_config_selectorIfEEZNS1_11reduce_implILb1ES3_PfS7_fN6thrust23THRUST_200600_302600_NS4plusIfEEEE10hipError_tPvRmT1_T2_T3_mT4_P12ihipStream_tbEUlT_E0_NS1_11comp_targetILNS1_3genE9ELNS1_11target_archE1100ELNS1_3gpuE3ELNS1_3repE0EEENS1_30default_config_static_selectorELNS0_4arch9wavefront6targetE1EEEvSF_,@function
_ZN7rocprim17ROCPRIM_400000_NS6detail17trampoline_kernelINS0_14default_configENS1_22reduce_config_selectorIfEEZNS1_11reduce_implILb1ES3_PfS7_fN6thrust23THRUST_200600_302600_NS4plusIfEEEE10hipError_tPvRmT1_T2_T3_mT4_P12ihipStream_tbEUlT_E0_NS1_11comp_targetILNS1_3genE9ELNS1_11target_archE1100ELNS1_3gpuE3ELNS1_3repE0EEENS1_30default_config_static_selectorELNS0_4arch9wavefront6targetE1EEEvSF_: ; @_ZN7rocprim17ROCPRIM_400000_NS6detail17trampoline_kernelINS0_14default_configENS1_22reduce_config_selectorIfEEZNS1_11reduce_implILb1ES3_PfS7_fN6thrust23THRUST_200600_302600_NS4plusIfEEEE10hipError_tPvRmT1_T2_T3_mT4_P12ihipStream_tbEUlT_E0_NS1_11comp_targetILNS1_3genE9ELNS1_11target_archE1100ELNS1_3gpuE3ELNS1_3repE0EEENS1_30default_config_static_selectorELNS0_4arch9wavefront6targetE1EEEvSF_
; %bb.0:
	.section	.rodata,"a",@progbits
	.p2align	6, 0x0
	.amdhsa_kernel _ZN7rocprim17ROCPRIM_400000_NS6detail17trampoline_kernelINS0_14default_configENS1_22reduce_config_selectorIfEEZNS1_11reduce_implILb1ES3_PfS7_fN6thrust23THRUST_200600_302600_NS4plusIfEEEE10hipError_tPvRmT1_T2_T3_mT4_P12ihipStream_tbEUlT_E0_NS1_11comp_targetILNS1_3genE9ELNS1_11target_archE1100ELNS1_3gpuE3ELNS1_3repE0EEENS1_30default_config_static_selectorELNS0_4arch9wavefront6targetE1EEEvSF_
		.amdhsa_group_segment_fixed_size 0
		.amdhsa_private_segment_fixed_size 0
		.amdhsa_kernarg_size 56
		.amdhsa_user_sgpr_count 6
		.amdhsa_user_sgpr_private_segment_buffer 1
		.amdhsa_user_sgpr_dispatch_ptr 0
		.amdhsa_user_sgpr_queue_ptr 0
		.amdhsa_user_sgpr_kernarg_segment_ptr 1
		.amdhsa_user_sgpr_dispatch_id 0
		.amdhsa_user_sgpr_flat_scratch_init 0
		.amdhsa_user_sgpr_private_segment_size 0
		.amdhsa_uses_dynamic_stack 0
		.amdhsa_system_sgpr_private_segment_wavefront_offset 0
		.amdhsa_system_sgpr_workgroup_id_x 1
		.amdhsa_system_sgpr_workgroup_id_y 0
		.amdhsa_system_sgpr_workgroup_id_z 0
		.amdhsa_system_sgpr_workgroup_info 0
		.amdhsa_system_vgpr_workitem_id 0
		.amdhsa_next_free_vgpr 1
		.amdhsa_next_free_sgpr 0
		.amdhsa_reserve_vcc 0
		.amdhsa_reserve_flat_scratch 0
		.amdhsa_float_round_mode_32 0
		.amdhsa_float_round_mode_16_64 0
		.amdhsa_float_denorm_mode_32 3
		.amdhsa_float_denorm_mode_16_64 3
		.amdhsa_dx10_clamp 1
		.amdhsa_ieee_mode 1
		.amdhsa_fp16_overflow 0
		.amdhsa_exception_fp_ieee_invalid_op 0
		.amdhsa_exception_fp_denorm_src 0
		.amdhsa_exception_fp_ieee_div_zero 0
		.amdhsa_exception_fp_ieee_overflow 0
		.amdhsa_exception_fp_ieee_underflow 0
		.amdhsa_exception_fp_ieee_inexact 0
		.amdhsa_exception_int_div_zero 0
	.end_amdhsa_kernel
	.section	.text._ZN7rocprim17ROCPRIM_400000_NS6detail17trampoline_kernelINS0_14default_configENS1_22reduce_config_selectorIfEEZNS1_11reduce_implILb1ES3_PfS7_fN6thrust23THRUST_200600_302600_NS4plusIfEEEE10hipError_tPvRmT1_T2_T3_mT4_P12ihipStream_tbEUlT_E0_NS1_11comp_targetILNS1_3genE9ELNS1_11target_archE1100ELNS1_3gpuE3ELNS1_3repE0EEENS1_30default_config_static_selectorELNS0_4arch9wavefront6targetE1EEEvSF_,"axG",@progbits,_ZN7rocprim17ROCPRIM_400000_NS6detail17trampoline_kernelINS0_14default_configENS1_22reduce_config_selectorIfEEZNS1_11reduce_implILb1ES3_PfS7_fN6thrust23THRUST_200600_302600_NS4plusIfEEEE10hipError_tPvRmT1_T2_T3_mT4_P12ihipStream_tbEUlT_E0_NS1_11comp_targetILNS1_3genE9ELNS1_11target_archE1100ELNS1_3gpuE3ELNS1_3repE0EEENS1_30default_config_static_selectorELNS0_4arch9wavefront6targetE1EEEvSF_,comdat
.Lfunc_end7:
	.size	_ZN7rocprim17ROCPRIM_400000_NS6detail17trampoline_kernelINS0_14default_configENS1_22reduce_config_selectorIfEEZNS1_11reduce_implILb1ES3_PfS7_fN6thrust23THRUST_200600_302600_NS4plusIfEEEE10hipError_tPvRmT1_T2_T3_mT4_P12ihipStream_tbEUlT_E0_NS1_11comp_targetILNS1_3genE9ELNS1_11target_archE1100ELNS1_3gpuE3ELNS1_3repE0EEENS1_30default_config_static_selectorELNS0_4arch9wavefront6targetE1EEEvSF_, .Lfunc_end7-_ZN7rocprim17ROCPRIM_400000_NS6detail17trampoline_kernelINS0_14default_configENS1_22reduce_config_selectorIfEEZNS1_11reduce_implILb1ES3_PfS7_fN6thrust23THRUST_200600_302600_NS4plusIfEEEE10hipError_tPvRmT1_T2_T3_mT4_P12ihipStream_tbEUlT_E0_NS1_11comp_targetILNS1_3genE9ELNS1_11target_archE1100ELNS1_3gpuE3ELNS1_3repE0EEENS1_30default_config_static_selectorELNS0_4arch9wavefront6targetE1EEEvSF_
                                        ; -- End function
	.set _ZN7rocprim17ROCPRIM_400000_NS6detail17trampoline_kernelINS0_14default_configENS1_22reduce_config_selectorIfEEZNS1_11reduce_implILb1ES3_PfS7_fN6thrust23THRUST_200600_302600_NS4plusIfEEEE10hipError_tPvRmT1_T2_T3_mT4_P12ihipStream_tbEUlT_E0_NS1_11comp_targetILNS1_3genE9ELNS1_11target_archE1100ELNS1_3gpuE3ELNS1_3repE0EEENS1_30default_config_static_selectorELNS0_4arch9wavefront6targetE1EEEvSF_.num_vgpr, 0
	.set _ZN7rocprim17ROCPRIM_400000_NS6detail17trampoline_kernelINS0_14default_configENS1_22reduce_config_selectorIfEEZNS1_11reduce_implILb1ES3_PfS7_fN6thrust23THRUST_200600_302600_NS4plusIfEEEE10hipError_tPvRmT1_T2_T3_mT4_P12ihipStream_tbEUlT_E0_NS1_11comp_targetILNS1_3genE9ELNS1_11target_archE1100ELNS1_3gpuE3ELNS1_3repE0EEENS1_30default_config_static_selectorELNS0_4arch9wavefront6targetE1EEEvSF_.num_agpr, 0
	.set _ZN7rocprim17ROCPRIM_400000_NS6detail17trampoline_kernelINS0_14default_configENS1_22reduce_config_selectorIfEEZNS1_11reduce_implILb1ES3_PfS7_fN6thrust23THRUST_200600_302600_NS4plusIfEEEE10hipError_tPvRmT1_T2_T3_mT4_P12ihipStream_tbEUlT_E0_NS1_11comp_targetILNS1_3genE9ELNS1_11target_archE1100ELNS1_3gpuE3ELNS1_3repE0EEENS1_30default_config_static_selectorELNS0_4arch9wavefront6targetE1EEEvSF_.numbered_sgpr, 0
	.set _ZN7rocprim17ROCPRIM_400000_NS6detail17trampoline_kernelINS0_14default_configENS1_22reduce_config_selectorIfEEZNS1_11reduce_implILb1ES3_PfS7_fN6thrust23THRUST_200600_302600_NS4plusIfEEEE10hipError_tPvRmT1_T2_T3_mT4_P12ihipStream_tbEUlT_E0_NS1_11comp_targetILNS1_3genE9ELNS1_11target_archE1100ELNS1_3gpuE3ELNS1_3repE0EEENS1_30default_config_static_selectorELNS0_4arch9wavefront6targetE1EEEvSF_.num_named_barrier, 0
	.set _ZN7rocprim17ROCPRIM_400000_NS6detail17trampoline_kernelINS0_14default_configENS1_22reduce_config_selectorIfEEZNS1_11reduce_implILb1ES3_PfS7_fN6thrust23THRUST_200600_302600_NS4plusIfEEEE10hipError_tPvRmT1_T2_T3_mT4_P12ihipStream_tbEUlT_E0_NS1_11comp_targetILNS1_3genE9ELNS1_11target_archE1100ELNS1_3gpuE3ELNS1_3repE0EEENS1_30default_config_static_selectorELNS0_4arch9wavefront6targetE1EEEvSF_.private_seg_size, 0
	.set _ZN7rocprim17ROCPRIM_400000_NS6detail17trampoline_kernelINS0_14default_configENS1_22reduce_config_selectorIfEEZNS1_11reduce_implILb1ES3_PfS7_fN6thrust23THRUST_200600_302600_NS4plusIfEEEE10hipError_tPvRmT1_T2_T3_mT4_P12ihipStream_tbEUlT_E0_NS1_11comp_targetILNS1_3genE9ELNS1_11target_archE1100ELNS1_3gpuE3ELNS1_3repE0EEENS1_30default_config_static_selectorELNS0_4arch9wavefront6targetE1EEEvSF_.uses_vcc, 0
	.set _ZN7rocprim17ROCPRIM_400000_NS6detail17trampoline_kernelINS0_14default_configENS1_22reduce_config_selectorIfEEZNS1_11reduce_implILb1ES3_PfS7_fN6thrust23THRUST_200600_302600_NS4plusIfEEEE10hipError_tPvRmT1_T2_T3_mT4_P12ihipStream_tbEUlT_E0_NS1_11comp_targetILNS1_3genE9ELNS1_11target_archE1100ELNS1_3gpuE3ELNS1_3repE0EEENS1_30default_config_static_selectorELNS0_4arch9wavefront6targetE1EEEvSF_.uses_flat_scratch, 0
	.set _ZN7rocprim17ROCPRIM_400000_NS6detail17trampoline_kernelINS0_14default_configENS1_22reduce_config_selectorIfEEZNS1_11reduce_implILb1ES3_PfS7_fN6thrust23THRUST_200600_302600_NS4plusIfEEEE10hipError_tPvRmT1_T2_T3_mT4_P12ihipStream_tbEUlT_E0_NS1_11comp_targetILNS1_3genE9ELNS1_11target_archE1100ELNS1_3gpuE3ELNS1_3repE0EEENS1_30default_config_static_selectorELNS0_4arch9wavefront6targetE1EEEvSF_.has_dyn_sized_stack, 0
	.set _ZN7rocprim17ROCPRIM_400000_NS6detail17trampoline_kernelINS0_14default_configENS1_22reduce_config_selectorIfEEZNS1_11reduce_implILb1ES3_PfS7_fN6thrust23THRUST_200600_302600_NS4plusIfEEEE10hipError_tPvRmT1_T2_T3_mT4_P12ihipStream_tbEUlT_E0_NS1_11comp_targetILNS1_3genE9ELNS1_11target_archE1100ELNS1_3gpuE3ELNS1_3repE0EEENS1_30default_config_static_selectorELNS0_4arch9wavefront6targetE1EEEvSF_.has_recursion, 0
	.set _ZN7rocprim17ROCPRIM_400000_NS6detail17trampoline_kernelINS0_14default_configENS1_22reduce_config_selectorIfEEZNS1_11reduce_implILb1ES3_PfS7_fN6thrust23THRUST_200600_302600_NS4plusIfEEEE10hipError_tPvRmT1_T2_T3_mT4_P12ihipStream_tbEUlT_E0_NS1_11comp_targetILNS1_3genE9ELNS1_11target_archE1100ELNS1_3gpuE3ELNS1_3repE0EEENS1_30default_config_static_selectorELNS0_4arch9wavefront6targetE1EEEvSF_.has_indirect_call, 0
	.section	.AMDGPU.csdata,"",@progbits
; Kernel info:
; codeLenInByte = 0
; TotalNumSgprs: 4
; NumVgprs: 0
; ScratchSize: 0
; MemoryBound: 0
; FloatMode: 240
; IeeeMode: 1
; LDSByteSize: 0 bytes/workgroup (compile time only)
; SGPRBlocks: 0
; VGPRBlocks: 0
; NumSGPRsForWavesPerEU: 4
; NumVGPRsForWavesPerEU: 1
; Occupancy: 10
; WaveLimiterHint : 0
; COMPUTE_PGM_RSRC2:SCRATCH_EN: 0
; COMPUTE_PGM_RSRC2:USER_SGPR: 6
; COMPUTE_PGM_RSRC2:TRAP_HANDLER: 0
; COMPUTE_PGM_RSRC2:TGID_X_EN: 1
; COMPUTE_PGM_RSRC2:TGID_Y_EN: 0
; COMPUTE_PGM_RSRC2:TGID_Z_EN: 0
; COMPUTE_PGM_RSRC2:TIDIG_COMP_CNT: 0
	.section	.text._ZN7rocprim17ROCPRIM_400000_NS6detail17trampoline_kernelINS0_14default_configENS1_22reduce_config_selectorIfEEZNS1_11reduce_implILb1ES3_PfS7_fN6thrust23THRUST_200600_302600_NS4plusIfEEEE10hipError_tPvRmT1_T2_T3_mT4_P12ihipStream_tbEUlT_E0_NS1_11comp_targetILNS1_3genE8ELNS1_11target_archE1030ELNS1_3gpuE2ELNS1_3repE0EEENS1_30default_config_static_selectorELNS0_4arch9wavefront6targetE1EEEvSF_,"axG",@progbits,_ZN7rocprim17ROCPRIM_400000_NS6detail17trampoline_kernelINS0_14default_configENS1_22reduce_config_selectorIfEEZNS1_11reduce_implILb1ES3_PfS7_fN6thrust23THRUST_200600_302600_NS4plusIfEEEE10hipError_tPvRmT1_T2_T3_mT4_P12ihipStream_tbEUlT_E0_NS1_11comp_targetILNS1_3genE8ELNS1_11target_archE1030ELNS1_3gpuE2ELNS1_3repE0EEENS1_30default_config_static_selectorELNS0_4arch9wavefront6targetE1EEEvSF_,comdat
	.protected	_ZN7rocprim17ROCPRIM_400000_NS6detail17trampoline_kernelINS0_14default_configENS1_22reduce_config_selectorIfEEZNS1_11reduce_implILb1ES3_PfS7_fN6thrust23THRUST_200600_302600_NS4plusIfEEEE10hipError_tPvRmT1_T2_T3_mT4_P12ihipStream_tbEUlT_E0_NS1_11comp_targetILNS1_3genE8ELNS1_11target_archE1030ELNS1_3gpuE2ELNS1_3repE0EEENS1_30default_config_static_selectorELNS0_4arch9wavefront6targetE1EEEvSF_ ; -- Begin function _ZN7rocprim17ROCPRIM_400000_NS6detail17trampoline_kernelINS0_14default_configENS1_22reduce_config_selectorIfEEZNS1_11reduce_implILb1ES3_PfS7_fN6thrust23THRUST_200600_302600_NS4plusIfEEEE10hipError_tPvRmT1_T2_T3_mT4_P12ihipStream_tbEUlT_E0_NS1_11comp_targetILNS1_3genE8ELNS1_11target_archE1030ELNS1_3gpuE2ELNS1_3repE0EEENS1_30default_config_static_selectorELNS0_4arch9wavefront6targetE1EEEvSF_
	.globl	_ZN7rocprim17ROCPRIM_400000_NS6detail17trampoline_kernelINS0_14default_configENS1_22reduce_config_selectorIfEEZNS1_11reduce_implILb1ES3_PfS7_fN6thrust23THRUST_200600_302600_NS4plusIfEEEE10hipError_tPvRmT1_T2_T3_mT4_P12ihipStream_tbEUlT_E0_NS1_11comp_targetILNS1_3genE8ELNS1_11target_archE1030ELNS1_3gpuE2ELNS1_3repE0EEENS1_30default_config_static_selectorELNS0_4arch9wavefront6targetE1EEEvSF_
	.p2align	8
	.type	_ZN7rocprim17ROCPRIM_400000_NS6detail17trampoline_kernelINS0_14default_configENS1_22reduce_config_selectorIfEEZNS1_11reduce_implILb1ES3_PfS7_fN6thrust23THRUST_200600_302600_NS4plusIfEEEE10hipError_tPvRmT1_T2_T3_mT4_P12ihipStream_tbEUlT_E0_NS1_11comp_targetILNS1_3genE8ELNS1_11target_archE1030ELNS1_3gpuE2ELNS1_3repE0EEENS1_30default_config_static_selectorELNS0_4arch9wavefront6targetE1EEEvSF_,@function
_ZN7rocprim17ROCPRIM_400000_NS6detail17trampoline_kernelINS0_14default_configENS1_22reduce_config_selectorIfEEZNS1_11reduce_implILb1ES3_PfS7_fN6thrust23THRUST_200600_302600_NS4plusIfEEEE10hipError_tPvRmT1_T2_T3_mT4_P12ihipStream_tbEUlT_E0_NS1_11comp_targetILNS1_3genE8ELNS1_11target_archE1030ELNS1_3gpuE2ELNS1_3repE0EEENS1_30default_config_static_selectorELNS0_4arch9wavefront6targetE1EEEvSF_: ; @_ZN7rocprim17ROCPRIM_400000_NS6detail17trampoline_kernelINS0_14default_configENS1_22reduce_config_selectorIfEEZNS1_11reduce_implILb1ES3_PfS7_fN6thrust23THRUST_200600_302600_NS4plusIfEEEE10hipError_tPvRmT1_T2_T3_mT4_P12ihipStream_tbEUlT_E0_NS1_11comp_targetILNS1_3genE8ELNS1_11target_archE1030ELNS1_3gpuE2ELNS1_3repE0EEENS1_30default_config_static_selectorELNS0_4arch9wavefront6targetE1EEEvSF_
; %bb.0:
	.section	.rodata,"a",@progbits
	.p2align	6, 0x0
	.amdhsa_kernel _ZN7rocprim17ROCPRIM_400000_NS6detail17trampoline_kernelINS0_14default_configENS1_22reduce_config_selectorIfEEZNS1_11reduce_implILb1ES3_PfS7_fN6thrust23THRUST_200600_302600_NS4plusIfEEEE10hipError_tPvRmT1_T2_T3_mT4_P12ihipStream_tbEUlT_E0_NS1_11comp_targetILNS1_3genE8ELNS1_11target_archE1030ELNS1_3gpuE2ELNS1_3repE0EEENS1_30default_config_static_selectorELNS0_4arch9wavefront6targetE1EEEvSF_
		.amdhsa_group_segment_fixed_size 0
		.amdhsa_private_segment_fixed_size 0
		.amdhsa_kernarg_size 56
		.amdhsa_user_sgpr_count 6
		.amdhsa_user_sgpr_private_segment_buffer 1
		.amdhsa_user_sgpr_dispatch_ptr 0
		.amdhsa_user_sgpr_queue_ptr 0
		.amdhsa_user_sgpr_kernarg_segment_ptr 1
		.amdhsa_user_sgpr_dispatch_id 0
		.amdhsa_user_sgpr_flat_scratch_init 0
		.amdhsa_user_sgpr_private_segment_size 0
		.amdhsa_uses_dynamic_stack 0
		.amdhsa_system_sgpr_private_segment_wavefront_offset 0
		.amdhsa_system_sgpr_workgroup_id_x 1
		.amdhsa_system_sgpr_workgroup_id_y 0
		.amdhsa_system_sgpr_workgroup_id_z 0
		.amdhsa_system_sgpr_workgroup_info 0
		.amdhsa_system_vgpr_workitem_id 0
		.amdhsa_next_free_vgpr 1
		.amdhsa_next_free_sgpr 0
		.amdhsa_reserve_vcc 0
		.amdhsa_reserve_flat_scratch 0
		.amdhsa_float_round_mode_32 0
		.amdhsa_float_round_mode_16_64 0
		.amdhsa_float_denorm_mode_32 3
		.amdhsa_float_denorm_mode_16_64 3
		.amdhsa_dx10_clamp 1
		.amdhsa_ieee_mode 1
		.amdhsa_fp16_overflow 0
		.amdhsa_exception_fp_ieee_invalid_op 0
		.amdhsa_exception_fp_denorm_src 0
		.amdhsa_exception_fp_ieee_div_zero 0
		.amdhsa_exception_fp_ieee_overflow 0
		.amdhsa_exception_fp_ieee_underflow 0
		.amdhsa_exception_fp_ieee_inexact 0
		.amdhsa_exception_int_div_zero 0
	.end_amdhsa_kernel
	.section	.text._ZN7rocprim17ROCPRIM_400000_NS6detail17trampoline_kernelINS0_14default_configENS1_22reduce_config_selectorIfEEZNS1_11reduce_implILb1ES3_PfS7_fN6thrust23THRUST_200600_302600_NS4plusIfEEEE10hipError_tPvRmT1_T2_T3_mT4_P12ihipStream_tbEUlT_E0_NS1_11comp_targetILNS1_3genE8ELNS1_11target_archE1030ELNS1_3gpuE2ELNS1_3repE0EEENS1_30default_config_static_selectorELNS0_4arch9wavefront6targetE1EEEvSF_,"axG",@progbits,_ZN7rocprim17ROCPRIM_400000_NS6detail17trampoline_kernelINS0_14default_configENS1_22reduce_config_selectorIfEEZNS1_11reduce_implILb1ES3_PfS7_fN6thrust23THRUST_200600_302600_NS4plusIfEEEE10hipError_tPvRmT1_T2_T3_mT4_P12ihipStream_tbEUlT_E0_NS1_11comp_targetILNS1_3genE8ELNS1_11target_archE1030ELNS1_3gpuE2ELNS1_3repE0EEENS1_30default_config_static_selectorELNS0_4arch9wavefront6targetE1EEEvSF_,comdat
.Lfunc_end8:
	.size	_ZN7rocprim17ROCPRIM_400000_NS6detail17trampoline_kernelINS0_14default_configENS1_22reduce_config_selectorIfEEZNS1_11reduce_implILb1ES3_PfS7_fN6thrust23THRUST_200600_302600_NS4plusIfEEEE10hipError_tPvRmT1_T2_T3_mT4_P12ihipStream_tbEUlT_E0_NS1_11comp_targetILNS1_3genE8ELNS1_11target_archE1030ELNS1_3gpuE2ELNS1_3repE0EEENS1_30default_config_static_selectorELNS0_4arch9wavefront6targetE1EEEvSF_, .Lfunc_end8-_ZN7rocprim17ROCPRIM_400000_NS6detail17trampoline_kernelINS0_14default_configENS1_22reduce_config_selectorIfEEZNS1_11reduce_implILb1ES3_PfS7_fN6thrust23THRUST_200600_302600_NS4plusIfEEEE10hipError_tPvRmT1_T2_T3_mT4_P12ihipStream_tbEUlT_E0_NS1_11comp_targetILNS1_3genE8ELNS1_11target_archE1030ELNS1_3gpuE2ELNS1_3repE0EEENS1_30default_config_static_selectorELNS0_4arch9wavefront6targetE1EEEvSF_
                                        ; -- End function
	.set _ZN7rocprim17ROCPRIM_400000_NS6detail17trampoline_kernelINS0_14default_configENS1_22reduce_config_selectorIfEEZNS1_11reduce_implILb1ES3_PfS7_fN6thrust23THRUST_200600_302600_NS4plusIfEEEE10hipError_tPvRmT1_T2_T3_mT4_P12ihipStream_tbEUlT_E0_NS1_11comp_targetILNS1_3genE8ELNS1_11target_archE1030ELNS1_3gpuE2ELNS1_3repE0EEENS1_30default_config_static_selectorELNS0_4arch9wavefront6targetE1EEEvSF_.num_vgpr, 0
	.set _ZN7rocprim17ROCPRIM_400000_NS6detail17trampoline_kernelINS0_14default_configENS1_22reduce_config_selectorIfEEZNS1_11reduce_implILb1ES3_PfS7_fN6thrust23THRUST_200600_302600_NS4plusIfEEEE10hipError_tPvRmT1_T2_T3_mT4_P12ihipStream_tbEUlT_E0_NS1_11comp_targetILNS1_3genE8ELNS1_11target_archE1030ELNS1_3gpuE2ELNS1_3repE0EEENS1_30default_config_static_selectorELNS0_4arch9wavefront6targetE1EEEvSF_.num_agpr, 0
	.set _ZN7rocprim17ROCPRIM_400000_NS6detail17trampoline_kernelINS0_14default_configENS1_22reduce_config_selectorIfEEZNS1_11reduce_implILb1ES3_PfS7_fN6thrust23THRUST_200600_302600_NS4plusIfEEEE10hipError_tPvRmT1_T2_T3_mT4_P12ihipStream_tbEUlT_E0_NS1_11comp_targetILNS1_3genE8ELNS1_11target_archE1030ELNS1_3gpuE2ELNS1_3repE0EEENS1_30default_config_static_selectorELNS0_4arch9wavefront6targetE1EEEvSF_.numbered_sgpr, 0
	.set _ZN7rocprim17ROCPRIM_400000_NS6detail17trampoline_kernelINS0_14default_configENS1_22reduce_config_selectorIfEEZNS1_11reduce_implILb1ES3_PfS7_fN6thrust23THRUST_200600_302600_NS4plusIfEEEE10hipError_tPvRmT1_T2_T3_mT4_P12ihipStream_tbEUlT_E0_NS1_11comp_targetILNS1_3genE8ELNS1_11target_archE1030ELNS1_3gpuE2ELNS1_3repE0EEENS1_30default_config_static_selectorELNS0_4arch9wavefront6targetE1EEEvSF_.num_named_barrier, 0
	.set _ZN7rocprim17ROCPRIM_400000_NS6detail17trampoline_kernelINS0_14default_configENS1_22reduce_config_selectorIfEEZNS1_11reduce_implILb1ES3_PfS7_fN6thrust23THRUST_200600_302600_NS4plusIfEEEE10hipError_tPvRmT1_T2_T3_mT4_P12ihipStream_tbEUlT_E0_NS1_11comp_targetILNS1_3genE8ELNS1_11target_archE1030ELNS1_3gpuE2ELNS1_3repE0EEENS1_30default_config_static_selectorELNS0_4arch9wavefront6targetE1EEEvSF_.private_seg_size, 0
	.set _ZN7rocprim17ROCPRIM_400000_NS6detail17trampoline_kernelINS0_14default_configENS1_22reduce_config_selectorIfEEZNS1_11reduce_implILb1ES3_PfS7_fN6thrust23THRUST_200600_302600_NS4plusIfEEEE10hipError_tPvRmT1_T2_T3_mT4_P12ihipStream_tbEUlT_E0_NS1_11comp_targetILNS1_3genE8ELNS1_11target_archE1030ELNS1_3gpuE2ELNS1_3repE0EEENS1_30default_config_static_selectorELNS0_4arch9wavefront6targetE1EEEvSF_.uses_vcc, 0
	.set _ZN7rocprim17ROCPRIM_400000_NS6detail17trampoline_kernelINS0_14default_configENS1_22reduce_config_selectorIfEEZNS1_11reduce_implILb1ES3_PfS7_fN6thrust23THRUST_200600_302600_NS4plusIfEEEE10hipError_tPvRmT1_T2_T3_mT4_P12ihipStream_tbEUlT_E0_NS1_11comp_targetILNS1_3genE8ELNS1_11target_archE1030ELNS1_3gpuE2ELNS1_3repE0EEENS1_30default_config_static_selectorELNS0_4arch9wavefront6targetE1EEEvSF_.uses_flat_scratch, 0
	.set _ZN7rocprim17ROCPRIM_400000_NS6detail17trampoline_kernelINS0_14default_configENS1_22reduce_config_selectorIfEEZNS1_11reduce_implILb1ES3_PfS7_fN6thrust23THRUST_200600_302600_NS4plusIfEEEE10hipError_tPvRmT1_T2_T3_mT4_P12ihipStream_tbEUlT_E0_NS1_11comp_targetILNS1_3genE8ELNS1_11target_archE1030ELNS1_3gpuE2ELNS1_3repE0EEENS1_30default_config_static_selectorELNS0_4arch9wavefront6targetE1EEEvSF_.has_dyn_sized_stack, 0
	.set _ZN7rocprim17ROCPRIM_400000_NS6detail17trampoline_kernelINS0_14default_configENS1_22reduce_config_selectorIfEEZNS1_11reduce_implILb1ES3_PfS7_fN6thrust23THRUST_200600_302600_NS4plusIfEEEE10hipError_tPvRmT1_T2_T3_mT4_P12ihipStream_tbEUlT_E0_NS1_11comp_targetILNS1_3genE8ELNS1_11target_archE1030ELNS1_3gpuE2ELNS1_3repE0EEENS1_30default_config_static_selectorELNS0_4arch9wavefront6targetE1EEEvSF_.has_recursion, 0
	.set _ZN7rocprim17ROCPRIM_400000_NS6detail17trampoline_kernelINS0_14default_configENS1_22reduce_config_selectorIfEEZNS1_11reduce_implILb1ES3_PfS7_fN6thrust23THRUST_200600_302600_NS4plusIfEEEE10hipError_tPvRmT1_T2_T3_mT4_P12ihipStream_tbEUlT_E0_NS1_11comp_targetILNS1_3genE8ELNS1_11target_archE1030ELNS1_3gpuE2ELNS1_3repE0EEENS1_30default_config_static_selectorELNS0_4arch9wavefront6targetE1EEEvSF_.has_indirect_call, 0
	.section	.AMDGPU.csdata,"",@progbits
; Kernel info:
; codeLenInByte = 0
; TotalNumSgprs: 4
; NumVgprs: 0
; ScratchSize: 0
; MemoryBound: 0
; FloatMode: 240
; IeeeMode: 1
; LDSByteSize: 0 bytes/workgroup (compile time only)
; SGPRBlocks: 0
; VGPRBlocks: 0
; NumSGPRsForWavesPerEU: 4
; NumVGPRsForWavesPerEU: 1
; Occupancy: 10
; WaveLimiterHint : 0
; COMPUTE_PGM_RSRC2:SCRATCH_EN: 0
; COMPUTE_PGM_RSRC2:USER_SGPR: 6
; COMPUTE_PGM_RSRC2:TRAP_HANDLER: 0
; COMPUTE_PGM_RSRC2:TGID_X_EN: 1
; COMPUTE_PGM_RSRC2:TGID_Y_EN: 0
; COMPUTE_PGM_RSRC2:TGID_Z_EN: 0
; COMPUTE_PGM_RSRC2:TIDIG_COMP_CNT: 0
	.section	.text._ZN7rocprim17ROCPRIM_400000_NS6detail17trampoline_kernelINS0_14default_configENS1_22reduce_config_selectorIfEEZNS1_11reduce_implILb1ES3_PfS7_fN6thrust23THRUST_200600_302600_NS4plusIfEEEE10hipError_tPvRmT1_T2_T3_mT4_P12ihipStream_tbEUlT_E1_NS1_11comp_targetILNS1_3genE0ELNS1_11target_archE4294967295ELNS1_3gpuE0ELNS1_3repE0EEENS1_30default_config_static_selectorELNS0_4arch9wavefront6targetE1EEEvSF_,"axG",@progbits,_ZN7rocprim17ROCPRIM_400000_NS6detail17trampoline_kernelINS0_14default_configENS1_22reduce_config_selectorIfEEZNS1_11reduce_implILb1ES3_PfS7_fN6thrust23THRUST_200600_302600_NS4plusIfEEEE10hipError_tPvRmT1_T2_T3_mT4_P12ihipStream_tbEUlT_E1_NS1_11comp_targetILNS1_3genE0ELNS1_11target_archE4294967295ELNS1_3gpuE0ELNS1_3repE0EEENS1_30default_config_static_selectorELNS0_4arch9wavefront6targetE1EEEvSF_,comdat
	.protected	_ZN7rocprim17ROCPRIM_400000_NS6detail17trampoline_kernelINS0_14default_configENS1_22reduce_config_selectorIfEEZNS1_11reduce_implILb1ES3_PfS7_fN6thrust23THRUST_200600_302600_NS4plusIfEEEE10hipError_tPvRmT1_T2_T3_mT4_P12ihipStream_tbEUlT_E1_NS1_11comp_targetILNS1_3genE0ELNS1_11target_archE4294967295ELNS1_3gpuE0ELNS1_3repE0EEENS1_30default_config_static_selectorELNS0_4arch9wavefront6targetE1EEEvSF_ ; -- Begin function _ZN7rocprim17ROCPRIM_400000_NS6detail17trampoline_kernelINS0_14default_configENS1_22reduce_config_selectorIfEEZNS1_11reduce_implILb1ES3_PfS7_fN6thrust23THRUST_200600_302600_NS4plusIfEEEE10hipError_tPvRmT1_T2_T3_mT4_P12ihipStream_tbEUlT_E1_NS1_11comp_targetILNS1_3genE0ELNS1_11target_archE4294967295ELNS1_3gpuE0ELNS1_3repE0EEENS1_30default_config_static_selectorELNS0_4arch9wavefront6targetE1EEEvSF_
	.globl	_ZN7rocprim17ROCPRIM_400000_NS6detail17trampoline_kernelINS0_14default_configENS1_22reduce_config_selectorIfEEZNS1_11reduce_implILb1ES3_PfS7_fN6thrust23THRUST_200600_302600_NS4plusIfEEEE10hipError_tPvRmT1_T2_T3_mT4_P12ihipStream_tbEUlT_E1_NS1_11comp_targetILNS1_3genE0ELNS1_11target_archE4294967295ELNS1_3gpuE0ELNS1_3repE0EEENS1_30default_config_static_selectorELNS0_4arch9wavefront6targetE1EEEvSF_
	.p2align	8
	.type	_ZN7rocprim17ROCPRIM_400000_NS6detail17trampoline_kernelINS0_14default_configENS1_22reduce_config_selectorIfEEZNS1_11reduce_implILb1ES3_PfS7_fN6thrust23THRUST_200600_302600_NS4plusIfEEEE10hipError_tPvRmT1_T2_T3_mT4_P12ihipStream_tbEUlT_E1_NS1_11comp_targetILNS1_3genE0ELNS1_11target_archE4294967295ELNS1_3gpuE0ELNS1_3repE0EEENS1_30default_config_static_selectorELNS0_4arch9wavefront6targetE1EEEvSF_,@function
_ZN7rocprim17ROCPRIM_400000_NS6detail17trampoline_kernelINS0_14default_configENS1_22reduce_config_selectorIfEEZNS1_11reduce_implILb1ES3_PfS7_fN6thrust23THRUST_200600_302600_NS4plusIfEEEE10hipError_tPvRmT1_T2_T3_mT4_P12ihipStream_tbEUlT_E1_NS1_11comp_targetILNS1_3genE0ELNS1_11target_archE4294967295ELNS1_3gpuE0ELNS1_3repE0EEENS1_30default_config_static_selectorELNS0_4arch9wavefront6targetE1EEEvSF_: ; @_ZN7rocprim17ROCPRIM_400000_NS6detail17trampoline_kernelINS0_14default_configENS1_22reduce_config_selectorIfEEZNS1_11reduce_implILb1ES3_PfS7_fN6thrust23THRUST_200600_302600_NS4plusIfEEEE10hipError_tPvRmT1_T2_T3_mT4_P12ihipStream_tbEUlT_E1_NS1_11comp_targetILNS1_3genE0ELNS1_11target_archE4294967295ELNS1_3gpuE0ELNS1_3repE0EEENS1_30default_config_static_selectorELNS0_4arch9wavefront6targetE1EEEvSF_
; %bb.0:
	.section	.rodata,"a",@progbits
	.p2align	6, 0x0
	.amdhsa_kernel _ZN7rocprim17ROCPRIM_400000_NS6detail17trampoline_kernelINS0_14default_configENS1_22reduce_config_selectorIfEEZNS1_11reduce_implILb1ES3_PfS7_fN6thrust23THRUST_200600_302600_NS4plusIfEEEE10hipError_tPvRmT1_T2_T3_mT4_P12ihipStream_tbEUlT_E1_NS1_11comp_targetILNS1_3genE0ELNS1_11target_archE4294967295ELNS1_3gpuE0ELNS1_3repE0EEENS1_30default_config_static_selectorELNS0_4arch9wavefront6targetE1EEEvSF_
		.amdhsa_group_segment_fixed_size 0
		.amdhsa_private_segment_fixed_size 0
		.amdhsa_kernarg_size 40
		.amdhsa_user_sgpr_count 6
		.amdhsa_user_sgpr_private_segment_buffer 1
		.amdhsa_user_sgpr_dispatch_ptr 0
		.amdhsa_user_sgpr_queue_ptr 0
		.amdhsa_user_sgpr_kernarg_segment_ptr 1
		.amdhsa_user_sgpr_dispatch_id 0
		.amdhsa_user_sgpr_flat_scratch_init 0
		.amdhsa_user_sgpr_private_segment_size 0
		.amdhsa_uses_dynamic_stack 0
		.amdhsa_system_sgpr_private_segment_wavefront_offset 0
		.amdhsa_system_sgpr_workgroup_id_x 1
		.amdhsa_system_sgpr_workgroup_id_y 0
		.amdhsa_system_sgpr_workgroup_id_z 0
		.amdhsa_system_sgpr_workgroup_info 0
		.amdhsa_system_vgpr_workitem_id 0
		.amdhsa_next_free_vgpr 1
		.amdhsa_next_free_sgpr 0
		.amdhsa_reserve_vcc 0
		.amdhsa_reserve_flat_scratch 0
		.amdhsa_float_round_mode_32 0
		.amdhsa_float_round_mode_16_64 0
		.amdhsa_float_denorm_mode_32 3
		.amdhsa_float_denorm_mode_16_64 3
		.amdhsa_dx10_clamp 1
		.amdhsa_ieee_mode 1
		.amdhsa_fp16_overflow 0
		.amdhsa_exception_fp_ieee_invalid_op 0
		.amdhsa_exception_fp_denorm_src 0
		.amdhsa_exception_fp_ieee_div_zero 0
		.amdhsa_exception_fp_ieee_overflow 0
		.amdhsa_exception_fp_ieee_underflow 0
		.amdhsa_exception_fp_ieee_inexact 0
		.amdhsa_exception_int_div_zero 0
	.end_amdhsa_kernel
	.section	.text._ZN7rocprim17ROCPRIM_400000_NS6detail17trampoline_kernelINS0_14default_configENS1_22reduce_config_selectorIfEEZNS1_11reduce_implILb1ES3_PfS7_fN6thrust23THRUST_200600_302600_NS4plusIfEEEE10hipError_tPvRmT1_T2_T3_mT4_P12ihipStream_tbEUlT_E1_NS1_11comp_targetILNS1_3genE0ELNS1_11target_archE4294967295ELNS1_3gpuE0ELNS1_3repE0EEENS1_30default_config_static_selectorELNS0_4arch9wavefront6targetE1EEEvSF_,"axG",@progbits,_ZN7rocprim17ROCPRIM_400000_NS6detail17trampoline_kernelINS0_14default_configENS1_22reduce_config_selectorIfEEZNS1_11reduce_implILb1ES3_PfS7_fN6thrust23THRUST_200600_302600_NS4plusIfEEEE10hipError_tPvRmT1_T2_T3_mT4_P12ihipStream_tbEUlT_E1_NS1_11comp_targetILNS1_3genE0ELNS1_11target_archE4294967295ELNS1_3gpuE0ELNS1_3repE0EEENS1_30default_config_static_selectorELNS0_4arch9wavefront6targetE1EEEvSF_,comdat
.Lfunc_end9:
	.size	_ZN7rocprim17ROCPRIM_400000_NS6detail17trampoline_kernelINS0_14default_configENS1_22reduce_config_selectorIfEEZNS1_11reduce_implILb1ES3_PfS7_fN6thrust23THRUST_200600_302600_NS4plusIfEEEE10hipError_tPvRmT1_T2_T3_mT4_P12ihipStream_tbEUlT_E1_NS1_11comp_targetILNS1_3genE0ELNS1_11target_archE4294967295ELNS1_3gpuE0ELNS1_3repE0EEENS1_30default_config_static_selectorELNS0_4arch9wavefront6targetE1EEEvSF_, .Lfunc_end9-_ZN7rocprim17ROCPRIM_400000_NS6detail17trampoline_kernelINS0_14default_configENS1_22reduce_config_selectorIfEEZNS1_11reduce_implILb1ES3_PfS7_fN6thrust23THRUST_200600_302600_NS4plusIfEEEE10hipError_tPvRmT1_T2_T3_mT4_P12ihipStream_tbEUlT_E1_NS1_11comp_targetILNS1_3genE0ELNS1_11target_archE4294967295ELNS1_3gpuE0ELNS1_3repE0EEENS1_30default_config_static_selectorELNS0_4arch9wavefront6targetE1EEEvSF_
                                        ; -- End function
	.set _ZN7rocprim17ROCPRIM_400000_NS6detail17trampoline_kernelINS0_14default_configENS1_22reduce_config_selectorIfEEZNS1_11reduce_implILb1ES3_PfS7_fN6thrust23THRUST_200600_302600_NS4plusIfEEEE10hipError_tPvRmT1_T2_T3_mT4_P12ihipStream_tbEUlT_E1_NS1_11comp_targetILNS1_3genE0ELNS1_11target_archE4294967295ELNS1_3gpuE0ELNS1_3repE0EEENS1_30default_config_static_selectorELNS0_4arch9wavefront6targetE1EEEvSF_.num_vgpr, 0
	.set _ZN7rocprim17ROCPRIM_400000_NS6detail17trampoline_kernelINS0_14default_configENS1_22reduce_config_selectorIfEEZNS1_11reduce_implILb1ES3_PfS7_fN6thrust23THRUST_200600_302600_NS4plusIfEEEE10hipError_tPvRmT1_T2_T3_mT4_P12ihipStream_tbEUlT_E1_NS1_11comp_targetILNS1_3genE0ELNS1_11target_archE4294967295ELNS1_3gpuE0ELNS1_3repE0EEENS1_30default_config_static_selectorELNS0_4arch9wavefront6targetE1EEEvSF_.num_agpr, 0
	.set _ZN7rocprim17ROCPRIM_400000_NS6detail17trampoline_kernelINS0_14default_configENS1_22reduce_config_selectorIfEEZNS1_11reduce_implILb1ES3_PfS7_fN6thrust23THRUST_200600_302600_NS4plusIfEEEE10hipError_tPvRmT1_T2_T3_mT4_P12ihipStream_tbEUlT_E1_NS1_11comp_targetILNS1_3genE0ELNS1_11target_archE4294967295ELNS1_3gpuE0ELNS1_3repE0EEENS1_30default_config_static_selectorELNS0_4arch9wavefront6targetE1EEEvSF_.numbered_sgpr, 0
	.set _ZN7rocprim17ROCPRIM_400000_NS6detail17trampoline_kernelINS0_14default_configENS1_22reduce_config_selectorIfEEZNS1_11reduce_implILb1ES3_PfS7_fN6thrust23THRUST_200600_302600_NS4plusIfEEEE10hipError_tPvRmT1_T2_T3_mT4_P12ihipStream_tbEUlT_E1_NS1_11comp_targetILNS1_3genE0ELNS1_11target_archE4294967295ELNS1_3gpuE0ELNS1_3repE0EEENS1_30default_config_static_selectorELNS0_4arch9wavefront6targetE1EEEvSF_.num_named_barrier, 0
	.set _ZN7rocprim17ROCPRIM_400000_NS6detail17trampoline_kernelINS0_14default_configENS1_22reduce_config_selectorIfEEZNS1_11reduce_implILb1ES3_PfS7_fN6thrust23THRUST_200600_302600_NS4plusIfEEEE10hipError_tPvRmT1_T2_T3_mT4_P12ihipStream_tbEUlT_E1_NS1_11comp_targetILNS1_3genE0ELNS1_11target_archE4294967295ELNS1_3gpuE0ELNS1_3repE0EEENS1_30default_config_static_selectorELNS0_4arch9wavefront6targetE1EEEvSF_.private_seg_size, 0
	.set _ZN7rocprim17ROCPRIM_400000_NS6detail17trampoline_kernelINS0_14default_configENS1_22reduce_config_selectorIfEEZNS1_11reduce_implILb1ES3_PfS7_fN6thrust23THRUST_200600_302600_NS4plusIfEEEE10hipError_tPvRmT1_T2_T3_mT4_P12ihipStream_tbEUlT_E1_NS1_11comp_targetILNS1_3genE0ELNS1_11target_archE4294967295ELNS1_3gpuE0ELNS1_3repE0EEENS1_30default_config_static_selectorELNS0_4arch9wavefront6targetE1EEEvSF_.uses_vcc, 0
	.set _ZN7rocprim17ROCPRIM_400000_NS6detail17trampoline_kernelINS0_14default_configENS1_22reduce_config_selectorIfEEZNS1_11reduce_implILb1ES3_PfS7_fN6thrust23THRUST_200600_302600_NS4plusIfEEEE10hipError_tPvRmT1_T2_T3_mT4_P12ihipStream_tbEUlT_E1_NS1_11comp_targetILNS1_3genE0ELNS1_11target_archE4294967295ELNS1_3gpuE0ELNS1_3repE0EEENS1_30default_config_static_selectorELNS0_4arch9wavefront6targetE1EEEvSF_.uses_flat_scratch, 0
	.set _ZN7rocprim17ROCPRIM_400000_NS6detail17trampoline_kernelINS0_14default_configENS1_22reduce_config_selectorIfEEZNS1_11reduce_implILb1ES3_PfS7_fN6thrust23THRUST_200600_302600_NS4plusIfEEEE10hipError_tPvRmT1_T2_T3_mT4_P12ihipStream_tbEUlT_E1_NS1_11comp_targetILNS1_3genE0ELNS1_11target_archE4294967295ELNS1_3gpuE0ELNS1_3repE0EEENS1_30default_config_static_selectorELNS0_4arch9wavefront6targetE1EEEvSF_.has_dyn_sized_stack, 0
	.set _ZN7rocprim17ROCPRIM_400000_NS6detail17trampoline_kernelINS0_14default_configENS1_22reduce_config_selectorIfEEZNS1_11reduce_implILb1ES3_PfS7_fN6thrust23THRUST_200600_302600_NS4plusIfEEEE10hipError_tPvRmT1_T2_T3_mT4_P12ihipStream_tbEUlT_E1_NS1_11comp_targetILNS1_3genE0ELNS1_11target_archE4294967295ELNS1_3gpuE0ELNS1_3repE0EEENS1_30default_config_static_selectorELNS0_4arch9wavefront6targetE1EEEvSF_.has_recursion, 0
	.set _ZN7rocprim17ROCPRIM_400000_NS6detail17trampoline_kernelINS0_14default_configENS1_22reduce_config_selectorIfEEZNS1_11reduce_implILb1ES3_PfS7_fN6thrust23THRUST_200600_302600_NS4plusIfEEEE10hipError_tPvRmT1_T2_T3_mT4_P12ihipStream_tbEUlT_E1_NS1_11comp_targetILNS1_3genE0ELNS1_11target_archE4294967295ELNS1_3gpuE0ELNS1_3repE0EEENS1_30default_config_static_selectorELNS0_4arch9wavefront6targetE1EEEvSF_.has_indirect_call, 0
	.section	.AMDGPU.csdata,"",@progbits
; Kernel info:
; codeLenInByte = 0
; TotalNumSgprs: 4
; NumVgprs: 0
; ScratchSize: 0
; MemoryBound: 0
; FloatMode: 240
; IeeeMode: 1
; LDSByteSize: 0 bytes/workgroup (compile time only)
; SGPRBlocks: 0
; VGPRBlocks: 0
; NumSGPRsForWavesPerEU: 4
; NumVGPRsForWavesPerEU: 1
; Occupancy: 10
; WaveLimiterHint : 0
; COMPUTE_PGM_RSRC2:SCRATCH_EN: 0
; COMPUTE_PGM_RSRC2:USER_SGPR: 6
; COMPUTE_PGM_RSRC2:TRAP_HANDLER: 0
; COMPUTE_PGM_RSRC2:TGID_X_EN: 1
; COMPUTE_PGM_RSRC2:TGID_Y_EN: 0
; COMPUTE_PGM_RSRC2:TGID_Z_EN: 0
; COMPUTE_PGM_RSRC2:TIDIG_COMP_CNT: 0
	.section	.text._ZN7rocprim17ROCPRIM_400000_NS6detail17trampoline_kernelINS0_14default_configENS1_22reduce_config_selectorIfEEZNS1_11reduce_implILb1ES3_PfS7_fN6thrust23THRUST_200600_302600_NS4plusIfEEEE10hipError_tPvRmT1_T2_T3_mT4_P12ihipStream_tbEUlT_E1_NS1_11comp_targetILNS1_3genE5ELNS1_11target_archE942ELNS1_3gpuE9ELNS1_3repE0EEENS1_30default_config_static_selectorELNS0_4arch9wavefront6targetE1EEEvSF_,"axG",@progbits,_ZN7rocprim17ROCPRIM_400000_NS6detail17trampoline_kernelINS0_14default_configENS1_22reduce_config_selectorIfEEZNS1_11reduce_implILb1ES3_PfS7_fN6thrust23THRUST_200600_302600_NS4plusIfEEEE10hipError_tPvRmT1_T2_T3_mT4_P12ihipStream_tbEUlT_E1_NS1_11comp_targetILNS1_3genE5ELNS1_11target_archE942ELNS1_3gpuE9ELNS1_3repE0EEENS1_30default_config_static_selectorELNS0_4arch9wavefront6targetE1EEEvSF_,comdat
	.protected	_ZN7rocprim17ROCPRIM_400000_NS6detail17trampoline_kernelINS0_14default_configENS1_22reduce_config_selectorIfEEZNS1_11reduce_implILb1ES3_PfS7_fN6thrust23THRUST_200600_302600_NS4plusIfEEEE10hipError_tPvRmT1_T2_T3_mT4_P12ihipStream_tbEUlT_E1_NS1_11comp_targetILNS1_3genE5ELNS1_11target_archE942ELNS1_3gpuE9ELNS1_3repE0EEENS1_30default_config_static_selectorELNS0_4arch9wavefront6targetE1EEEvSF_ ; -- Begin function _ZN7rocprim17ROCPRIM_400000_NS6detail17trampoline_kernelINS0_14default_configENS1_22reduce_config_selectorIfEEZNS1_11reduce_implILb1ES3_PfS7_fN6thrust23THRUST_200600_302600_NS4plusIfEEEE10hipError_tPvRmT1_T2_T3_mT4_P12ihipStream_tbEUlT_E1_NS1_11comp_targetILNS1_3genE5ELNS1_11target_archE942ELNS1_3gpuE9ELNS1_3repE0EEENS1_30default_config_static_selectorELNS0_4arch9wavefront6targetE1EEEvSF_
	.globl	_ZN7rocprim17ROCPRIM_400000_NS6detail17trampoline_kernelINS0_14default_configENS1_22reduce_config_selectorIfEEZNS1_11reduce_implILb1ES3_PfS7_fN6thrust23THRUST_200600_302600_NS4plusIfEEEE10hipError_tPvRmT1_T2_T3_mT4_P12ihipStream_tbEUlT_E1_NS1_11comp_targetILNS1_3genE5ELNS1_11target_archE942ELNS1_3gpuE9ELNS1_3repE0EEENS1_30default_config_static_selectorELNS0_4arch9wavefront6targetE1EEEvSF_
	.p2align	8
	.type	_ZN7rocprim17ROCPRIM_400000_NS6detail17trampoline_kernelINS0_14default_configENS1_22reduce_config_selectorIfEEZNS1_11reduce_implILb1ES3_PfS7_fN6thrust23THRUST_200600_302600_NS4plusIfEEEE10hipError_tPvRmT1_T2_T3_mT4_P12ihipStream_tbEUlT_E1_NS1_11comp_targetILNS1_3genE5ELNS1_11target_archE942ELNS1_3gpuE9ELNS1_3repE0EEENS1_30default_config_static_selectorELNS0_4arch9wavefront6targetE1EEEvSF_,@function
_ZN7rocprim17ROCPRIM_400000_NS6detail17trampoline_kernelINS0_14default_configENS1_22reduce_config_selectorIfEEZNS1_11reduce_implILb1ES3_PfS7_fN6thrust23THRUST_200600_302600_NS4plusIfEEEE10hipError_tPvRmT1_T2_T3_mT4_P12ihipStream_tbEUlT_E1_NS1_11comp_targetILNS1_3genE5ELNS1_11target_archE942ELNS1_3gpuE9ELNS1_3repE0EEENS1_30default_config_static_selectorELNS0_4arch9wavefront6targetE1EEEvSF_: ; @_ZN7rocprim17ROCPRIM_400000_NS6detail17trampoline_kernelINS0_14default_configENS1_22reduce_config_selectorIfEEZNS1_11reduce_implILb1ES3_PfS7_fN6thrust23THRUST_200600_302600_NS4plusIfEEEE10hipError_tPvRmT1_T2_T3_mT4_P12ihipStream_tbEUlT_E1_NS1_11comp_targetILNS1_3genE5ELNS1_11target_archE942ELNS1_3gpuE9ELNS1_3repE0EEENS1_30default_config_static_selectorELNS0_4arch9wavefront6targetE1EEEvSF_
; %bb.0:
	.section	.rodata,"a",@progbits
	.p2align	6, 0x0
	.amdhsa_kernel _ZN7rocprim17ROCPRIM_400000_NS6detail17trampoline_kernelINS0_14default_configENS1_22reduce_config_selectorIfEEZNS1_11reduce_implILb1ES3_PfS7_fN6thrust23THRUST_200600_302600_NS4plusIfEEEE10hipError_tPvRmT1_T2_T3_mT4_P12ihipStream_tbEUlT_E1_NS1_11comp_targetILNS1_3genE5ELNS1_11target_archE942ELNS1_3gpuE9ELNS1_3repE0EEENS1_30default_config_static_selectorELNS0_4arch9wavefront6targetE1EEEvSF_
		.amdhsa_group_segment_fixed_size 0
		.amdhsa_private_segment_fixed_size 0
		.amdhsa_kernarg_size 40
		.amdhsa_user_sgpr_count 6
		.amdhsa_user_sgpr_private_segment_buffer 1
		.amdhsa_user_sgpr_dispatch_ptr 0
		.amdhsa_user_sgpr_queue_ptr 0
		.amdhsa_user_sgpr_kernarg_segment_ptr 1
		.amdhsa_user_sgpr_dispatch_id 0
		.amdhsa_user_sgpr_flat_scratch_init 0
		.amdhsa_user_sgpr_private_segment_size 0
		.amdhsa_uses_dynamic_stack 0
		.amdhsa_system_sgpr_private_segment_wavefront_offset 0
		.amdhsa_system_sgpr_workgroup_id_x 1
		.amdhsa_system_sgpr_workgroup_id_y 0
		.amdhsa_system_sgpr_workgroup_id_z 0
		.amdhsa_system_sgpr_workgroup_info 0
		.amdhsa_system_vgpr_workitem_id 0
		.amdhsa_next_free_vgpr 1
		.amdhsa_next_free_sgpr 0
		.amdhsa_reserve_vcc 0
		.amdhsa_reserve_flat_scratch 0
		.amdhsa_float_round_mode_32 0
		.amdhsa_float_round_mode_16_64 0
		.amdhsa_float_denorm_mode_32 3
		.amdhsa_float_denorm_mode_16_64 3
		.amdhsa_dx10_clamp 1
		.amdhsa_ieee_mode 1
		.amdhsa_fp16_overflow 0
		.amdhsa_exception_fp_ieee_invalid_op 0
		.amdhsa_exception_fp_denorm_src 0
		.amdhsa_exception_fp_ieee_div_zero 0
		.amdhsa_exception_fp_ieee_overflow 0
		.amdhsa_exception_fp_ieee_underflow 0
		.amdhsa_exception_fp_ieee_inexact 0
		.amdhsa_exception_int_div_zero 0
	.end_amdhsa_kernel
	.section	.text._ZN7rocprim17ROCPRIM_400000_NS6detail17trampoline_kernelINS0_14default_configENS1_22reduce_config_selectorIfEEZNS1_11reduce_implILb1ES3_PfS7_fN6thrust23THRUST_200600_302600_NS4plusIfEEEE10hipError_tPvRmT1_T2_T3_mT4_P12ihipStream_tbEUlT_E1_NS1_11comp_targetILNS1_3genE5ELNS1_11target_archE942ELNS1_3gpuE9ELNS1_3repE0EEENS1_30default_config_static_selectorELNS0_4arch9wavefront6targetE1EEEvSF_,"axG",@progbits,_ZN7rocprim17ROCPRIM_400000_NS6detail17trampoline_kernelINS0_14default_configENS1_22reduce_config_selectorIfEEZNS1_11reduce_implILb1ES3_PfS7_fN6thrust23THRUST_200600_302600_NS4plusIfEEEE10hipError_tPvRmT1_T2_T3_mT4_P12ihipStream_tbEUlT_E1_NS1_11comp_targetILNS1_3genE5ELNS1_11target_archE942ELNS1_3gpuE9ELNS1_3repE0EEENS1_30default_config_static_selectorELNS0_4arch9wavefront6targetE1EEEvSF_,comdat
.Lfunc_end10:
	.size	_ZN7rocprim17ROCPRIM_400000_NS6detail17trampoline_kernelINS0_14default_configENS1_22reduce_config_selectorIfEEZNS1_11reduce_implILb1ES3_PfS7_fN6thrust23THRUST_200600_302600_NS4plusIfEEEE10hipError_tPvRmT1_T2_T3_mT4_P12ihipStream_tbEUlT_E1_NS1_11comp_targetILNS1_3genE5ELNS1_11target_archE942ELNS1_3gpuE9ELNS1_3repE0EEENS1_30default_config_static_selectorELNS0_4arch9wavefront6targetE1EEEvSF_, .Lfunc_end10-_ZN7rocprim17ROCPRIM_400000_NS6detail17trampoline_kernelINS0_14default_configENS1_22reduce_config_selectorIfEEZNS1_11reduce_implILb1ES3_PfS7_fN6thrust23THRUST_200600_302600_NS4plusIfEEEE10hipError_tPvRmT1_T2_T3_mT4_P12ihipStream_tbEUlT_E1_NS1_11comp_targetILNS1_3genE5ELNS1_11target_archE942ELNS1_3gpuE9ELNS1_3repE0EEENS1_30default_config_static_selectorELNS0_4arch9wavefront6targetE1EEEvSF_
                                        ; -- End function
	.set _ZN7rocprim17ROCPRIM_400000_NS6detail17trampoline_kernelINS0_14default_configENS1_22reduce_config_selectorIfEEZNS1_11reduce_implILb1ES3_PfS7_fN6thrust23THRUST_200600_302600_NS4plusIfEEEE10hipError_tPvRmT1_T2_T3_mT4_P12ihipStream_tbEUlT_E1_NS1_11comp_targetILNS1_3genE5ELNS1_11target_archE942ELNS1_3gpuE9ELNS1_3repE0EEENS1_30default_config_static_selectorELNS0_4arch9wavefront6targetE1EEEvSF_.num_vgpr, 0
	.set _ZN7rocprim17ROCPRIM_400000_NS6detail17trampoline_kernelINS0_14default_configENS1_22reduce_config_selectorIfEEZNS1_11reduce_implILb1ES3_PfS7_fN6thrust23THRUST_200600_302600_NS4plusIfEEEE10hipError_tPvRmT1_T2_T3_mT4_P12ihipStream_tbEUlT_E1_NS1_11comp_targetILNS1_3genE5ELNS1_11target_archE942ELNS1_3gpuE9ELNS1_3repE0EEENS1_30default_config_static_selectorELNS0_4arch9wavefront6targetE1EEEvSF_.num_agpr, 0
	.set _ZN7rocprim17ROCPRIM_400000_NS6detail17trampoline_kernelINS0_14default_configENS1_22reduce_config_selectorIfEEZNS1_11reduce_implILb1ES3_PfS7_fN6thrust23THRUST_200600_302600_NS4plusIfEEEE10hipError_tPvRmT1_T2_T3_mT4_P12ihipStream_tbEUlT_E1_NS1_11comp_targetILNS1_3genE5ELNS1_11target_archE942ELNS1_3gpuE9ELNS1_3repE0EEENS1_30default_config_static_selectorELNS0_4arch9wavefront6targetE1EEEvSF_.numbered_sgpr, 0
	.set _ZN7rocprim17ROCPRIM_400000_NS6detail17trampoline_kernelINS0_14default_configENS1_22reduce_config_selectorIfEEZNS1_11reduce_implILb1ES3_PfS7_fN6thrust23THRUST_200600_302600_NS4plusIfEEEE10hipError_tPvRmT1_T2_T3_mT4_P12ihipStream_tbEUlT_E1_NS1_11comp_targetILNS1_3genE5ELNS1_11target_archE942ELNS1_3gpuE9ELNS1_3repE0EEENS1_30default_config_static_selectorELNS0_4arch9wavefront6targetE1EEEvSF_.num_named_barrier, 0
	.set _ZN7rocprim17ROCPRIM_400000_NS6detail17trampoline_kernelINS0_14default_configENS1_22reduce_config_selectorIfEEZNS1_11reduce_implILb1ES3_PfS7_fN6thrust23THRUST_200600_302600_NS4plusIfEEEE10hipError_tPvRmT1_T2_T3_mT4_P12ihipStream_tbEUlT_E1_NS1_11comp_targetILNS1_3genE5ELNS1_11target_archE942ELNS1_3gpuE9ELNS1_3repE0EEENS1_30default_config_static_selectorELNS0_4arch9wavefront6targetE1EEEvSF_.private_seg_size, 0
	.set _ZN7rocprim17ROCPRIM_400000_NS6detail17trampoline_kernelINS0_14default_configENS1_22reduce_config_selectorIfEEZNS1_11reduce_implILb1ES3_PfS7_fN6thrust23THRUST_200600_302600_NS4plusIfEEEE10hipError_tPvRmT1_T2_T3_mT4_P12ihipStream_tbEUlT_E1_NS1_11comp_targetILNS1_3genE5ELNS1_11target_archE942ELNS1_3gpuE9ELNS1_3repE0EEENS1_30default_config_static_selectorELNS0_4arch9wavefront6targetE1EEEvSF_.uses_vcc, 0
	.set _ZN7rocprim17ROCPRIM_400000_NS6detail17trampoline_kernelINS0_14default_configENS1_22reduce_config_selectorIfEEZNS1_11reduce_implILb1ES3_PfS7_fN6thrust23THRUST_200600_302600_NS4plusIfEEEE10hipError_tPvRmT1_T2_T3_mT4_P12ihipStream_tbEUlT_E1_NS1_11comp_targetILNS1_3genE5ELNS1_11target_archE942ELNS1_3gpuE9ELNS1_3repE0EEENS1_30default_config_static_selectorELNS0_4arch9wavefront6targetE1EEEvSF_.uses_flat_scratch, 0
	.set _ZN7rocprim17ROCPRIM_400000_NS6detail17trampoline_kernelINS0_14default_configENS1_22reduce_config_selectorIfEEZNS1_11reduce_implILb1ES3_PfS7_fN6thrust23THRUST_200600_302600_NS4plusIfEEEE10hipError_tPvRmT1_T2_T3_mT4_P12ihipStream_tbEUlT_E1_NS1_11comp_targetILNS1_3genE5ELNS1_11target_archE942ELNS1_3gpuE9ELNS1_3repE0EEENS1_30default_config_static_selectorELNS0_4arch9wavefront6targetE1EEEvSF_.has_dyn_sized_stack, 0
	.set _ZN7rocprim17ROCPRIM_400000_NS6detail17trampoline_kernelINS0_14default_configENS1_22reduce_config_selectorIfEEZNS1_11reduce_implILb1ES3_PfS7_fN6thrust23THRUST_200600_302600_NS4plusIfEEEE10hipError_tPvRmT1_T2_T3_mT4_P12ihipStream_tbEUlT_E1_NS1_11comp_targetILNS1_3genE5ELNS1_11target_archE942ELNS1_3gpuE9ELNS1_3repE0EEENS1_30default_config_static_selectorELNS0_4arch9wavefront6targetE1EEEvSF_.has_recursion, 0
	.set _ZN7rocprim17ROCPRIM_400000_NS6detail17trampoline_kernelINS0_14default_configENS1_22reduce_config_selectorIfEEZNS1_11reduce_implILb1ES3_PfS7_fN6thrust23THRUST_200600_302600_NS4plusIfEEEE10hipError_tPvRmT1_T2_T3_mT4_P12ihipStream_tbEUlT_E1_NS1_11comp_targetILNS1_3genE5ELNS1_11target_archE942ELNS1_3gpuE9ELNS1_3repE0EEENS1_30default_config_static_selectorELNS0_4arch9wavefront6targetE1EEEvSF_.has_indirect_call, 0
	.section	.AMDGPU.csdata,"",@progbits
; Kernel info:
; codeLenInByte = 0
; TotalNumSgprs: 4
; NumVgprs: 0
; ScratchSize: 0
; MemoryBound: 0
; FloatMode: 240
; IeeeMode: 1
; LDSByteSize: 0 bytes/workgroup (compile time only)
; SGPRBlocks: 0
; VGPRBlocks: 0
; NumSGPRsForWavesPerEU: 4
; NumVGPRsForWavesPerEU: 1
; Occupancy: 10
; WaveLimiterHint : 0
; COMPUTE_PGM_RSRC2:SCRATCH_EN: 0
; COMPUTE_PGM_RSRC2:USER_SGPR: 6
; COMPUTE_PGM_RSRC2:TRAP_HANDLER: 0
; COMPUTE_PGM_RSRC2:TGID_X_EN: 1
; COMPUTE_PGM_RSRC2:TGID_Y_EN: 0
; COMPUTE_PGM_RSRC2:TGID_Z_EN: 0
; COMPUTE_PGM_RSRC2:TIDIG_COMP_CNT: 0
	.section	.text._ZN7rocprim17ROCPRIM_400000_NS6detail17trampoline_kernelINS0_14default_configENS1_22reduce_config_selectorIfEEZNS1_11reduce_implILb1ES3_PfS7_fN6thrust23THRUST_200600_302600_NS4plusIfEEEE10hipError_tPvRmT1_T2_T3_mT4_P12ihipStream_tbEUlT_E1_NS1_11comp_targetILNS1_3genE4ELNS1_11target_archE910ELNS1_3gpuE8ELNS1_3repE0EEENS1_30default_config_static_selectorELNS0_4arch9wavefront6targetE1EEEvSF_,"axG",@progbits,_ZN7rocprim17ROCPRIM_400000_NS6detail17trampoline_kernelINS0_14default_configENS1_22reduce_config_selectorIfEEZNS1_11reduce_implILb1ES3_PfS7_fN6thrust23THRUST_200600_302600_NS4plusIfEEEE10hipError_tPvRmT1_T2_T3_mT4_P12ihipStream_tbEUlT_E1_NS1_11comp_targetILNS1_3genE4ELNS1_11target_archE910ELNS1_3gpuE8ELNS1_3repE0EEENS1_30default_config_static_selectorELNS0_4arch9wavefront6targetE1EEEvSF_,comdat
	.protected	_ZN7rocprim17ROCPRIM_400000_NS6detail17trampoline_kernelINS0_14default_configENS1_22reduce_config_selectorIfEEZNS1_11reduce_implILb1ES3_PfS7_fN6thrust23THRUST_200600_302600_NS4plusIfEEEE10hipError_tPvRmT1_T2_T3_mT4_P12ihipStream_tbEUlT_E1_NS1_11comp_targetILNS1_3genE4ELNS1_11target_archE910ELNS1_3gpuE8ELNS1_3repE0EEENS1_30default_config_static_selectorELNS0_4arch9wavefront6targetE1EEEvSF_ ; -- Begin function _ZN7rocprim17ROCPRIM_400000_NS6detail17trampoline_kernelINS0_14default_configENS1_22reduce_config_selectorIfEEZNS1_11reduce_implILb1ES3_PfS7_fN6thrust23THRUST_200600_302600_NS4plusIfEEEE10hipError_tPvRmT1_T2_T3_mT4_P12ihipStream_tbEUlT_E1_NS1_11comp_targetILNS1_3genE4ELNS1_11target_archE910ELNS1_3gpuE8ELNS1_3repE0EEENS1_30default_config_static_selectorELNS0_4arch9wavefront6targetE1EEEvSF_
	.globl	_ZN7rocprim17ROCPRIM_400000_NS6detail17trampoline_kernelINS0_14default_configENS1_22reduce_config_selectorIfEEZNS1_11reduce_implILb1ES3_PfS7_fN6thrust23THRUST_200600_302600_NS4plusIfEEEE10hipError_tPvRmT1_T2_T3_mT4_P12ihipStream_tbEUlT_E1_NS1_11comp_targetILNS1_3genE4ELNS1_11target_archE910ELNS1_3gpuE8ELNS1_3repE0EEENS1_30default_config_static_selectorELNS0_4arch9wavefront6targetE1EEEvSF_
	.p2align	8
	.type	_ZN7rocprim17ROCPRIM_400000_NS6detail17trampoline_kernelINS0_14default_configENS1_22reduce_config_selectorIfEEZNS1_11reduce_implILb1ES3_PfS7_fN6thrust23THRUST_200600_302600_NS4plusIfEEEE10hipError_tPvRmT1_T2_T3_mT4_P12ihipStream_tbEUlT_E1_NS1_11comp_targetILNS1_3genE4ELNS1_11target_archE910ELNS1_3gpuE8ELNS1_3repE0EEENS1_30default_config_static_selectorELNS0_4arch9wavefront6targetE1EEEvSF_,@function
_ZN7rocprim17ROCPRIM_400000_NS6detail17trampoline_kernelINS0_14default_configENS1_22reduce_config_selectorIfEEZNS1_11reduce_implILb1ES3_PfS7_fN6thrust23THRUST_200600_302600_NS4plusIfEEEE10hipError_tPvRmT1_T2_T3_mT4_P12ihipStream_tbEUlT_E1_NS1_11comp_targetILNS1_3genE4ELNS1_11target_archE910ELNS1_3gpuE8ELNS1_3repE0EEENS1_30default_config_static_selectorELNS0_4arch9wavefront6targetE1EEEvSF_: ; @_ZN7rocprim17ROCPRIM_400000_NS6detail17trampoline_kernelINS0_14default_configENS1_22reduce_config_selectorIfEEZNS1_11reduce_implILb1ES3_PfS7_fN6thrust23THRUST_200600_302600_NS4plusIfEEEE10hipError_tPvRmT1_T2_T3_mT4_P12ihipStream_tbEUlT_E1_NS1_11comp_targetILNS1_3genE4ELNS1_11target_archE910ELNS1_3gpuE8ELNS1_3repE0EEENS1_30default_config_static_selectorELNS0_4arch9wavefront6targetE1EEEvSF_
; %bb.0:
	.section	.rodata,"a",@progbits
	.p2align	6, 0x0
	.amdhsa_kernel _ZN7rocprim17ROCPRIM_400000_NS6detail17trampoline_kernelINS0_14default_configENS1_22reduce_config_selectorIfEEZNS1_11reduce_implILb1ES3_PfS7_fN6thrust23THRUST_200600_302600_NS4plusIfEEEE10hipError_tPvRmT1_T2_T3_mT4_P12ihipStream_tbEUlT_E1_NS1_11comp_targetILNS1_3genE4ELNS1_11target_archE910ELNS1_3gpuE8ELNS1_3repE0EEENS1_30default_config_static_selectorELNS0_4arch9wavefront6targetE1EEEvSF_
		.amdhsa_group_segment_fixed_size 0
		.amdhsa_private_segment_fixed_size 0
		.amdhsa_kernarg_size 40
		.amdhsa_user_sgpr_count 6
		.amdhsa_user_sgpr_private_segment_buffer 1
		.amdhsa_user_sgpr_dispatch_ptr 0
		.amdhsa_user_sgpr_queue_ptr 0
		.amdhsa_user_sgpr_kernarg_segment_ptr 1
		.amdhsa_user_sgpr_dispatch_id 0
		.amdhsa_user_sgpr_flat_scratch_init 0
		.amdhsa_user_sgpr_private_segment_size 0
		.amdhsa_uses_dynamic_stack 0
		.amdhsa_system_sgpr_private_segment_wavefront_offset 0
		.amdhsa_system_sgpr_workgroup_id_x 1
		.amdhsa_system_sgpr_workgroup_id_y 0
		.amdhsa_system_sgpr_workgroup_id_z 0
		.amdhsa_system_sgpr_workgroup_info 0
		.amdhsa_system_vgpr_workitem_id 0
		.amdhsa_next_free_vgpr 1
		.amdhsa_next_free_sgpr 0
		.amdhsa_reserve_vcc 0
		.amdhsa_reserve_flat_scratch 0
		.amdhsa_float_round_mode_32 0
		.amdhsa_float_round_mode_16_64 0
		.amdhsa_float_denorm_mode_32 3
		.amdhsa_float_denorm_mode_16_64 3
		.amdhsa_dx10_clamp 1
		.amdhsa_ieee_mode 1
		.amdhsa_fp16_overflow 0
		.amdhsa_exception_fp_ieee_invalid_op 0
		.amdhsa_exception_fp_denorm_src 0
		.amdhsa_exception_fp_ieee_div_zero 0
		.amdhsa_exception_fp_ieee_overflow 0
		.amdhsa_exception_fp_ieee_underflow 0
		.amdhsa_exception_fp_ieee_inexact 0
		.amdhsa_exception_int_div_zero 0
	.end_amdhsa_kernel
	.section	.text._ZN7rocprim17ROCPRIM_400000_NS6detail17trampoline_kernelINS0_14default_configENS1_22reduce_config_selectorIfEEZNS1_11reduce_implILb1ES3_PfS7_fN6thrust23THRUST_200600_302600_NS4plusIfEEEE10hipError_tPvRmT1_T2_T3_mT4_P12ihipStream_tbEUlT_E1_NS1_11comp_targetILNS1_3genE4ELNS1_11target_archE910ELNS1_3gpuE8ELNS1_3repE0EEENS1_30default_config_static_selectorELNS0_4arch9wavefront6targetE1EEEvSF_,"axG",@progbits,_ZN7rocprim17ROCPRIM_400000_NS6detail17trampoline_kernelINS0_14default_configENS1_22reduce_config_selectorIfEEZNS1_11reduce_implILb1ES3_PfS7_fN6thrust23THRUST_200600_302600_NS4plusIfEEEE10hipError_tPvRmT1_T2_T3_mT4_P12ihipStream_tbEUlT_E1_NS1_11comp_targetILNS1_3genE4ELNS1_11target_archE910ELNS1_3gpuE8ELNS1_3repE0EEENS1_30default_config_static_selectorELNS0_4arch9wavefront6targetE1EEEvSF_,comdat
.Lfunc_end11:
	.size	_ZN7rocprim17ROCPRIM_400000_NS6detail17trampoline_kernelINS0_14default_configENS1_22reduce_config_selectorIfEEZNS1_11reduce_implILb1ES3_PfS7_fN6thrust23THRUST_200600_302600_NS4plusIfEEEE10hipError_tPvRmT1_T2_T3_mT4_P12ihipStream_tbEUlT_E1_NS1_11comp_targetILNS1_3genE4ELNS1_11target_archE910ELNS1_3gpuE8ELNS1_3repE0EEENS1_30default_config_static_selectorELNS0_4arch9wavefront6targetE1EEEvSF_, .Lfunc_end11-_ZN7rocprim17ROCPRIM_400000_NS6detail17trampoline_kernelINS0_14default_configENS1_22reduce_config_selectorIfEEZNS1_11reduce_implILb1ES3_PfS7_fN6thrust23THRUST_200600_302600_NS4plusIfEEEE10hipError_tPvRmT1_T2_T3_mT4_P12ihipStream_tbEUlT_E1_NS1_11comp_targetILNS1_3genE4ELNS1_11target_archE910ELNS1_3gpuE8ELNS1_3repE0EEENS1_30default_config_static_selectorELNS0_4arch9wavefront6targetE1EEEvSF_
                                        ; -- End function
	.set _ZN7rocprim17ROCPRIM_400000_NS6detail17trampoline_kernelINS0_14default_configENS1_22reduce_config_selectorIfEEZNS1_11reduce_implILb1ES3_PfS7_fN6thrust23THRUST_200600_302600_NS4plusIfEEEE10hipError_tPvRmT1_T2_T3_mT4_P12ihipStream_tbEUlT_E1_NS1_11comp_targetILNS1_3genE4ELNS1_11target_archE910ELNS1_3gpuE8ELNS1_3repE0EEENS1_30default_config_static_selectorELNS0_4arch9wavefront6targetE1EEEvSF_.num_vgpr, 0
	.set _ZN7rocprim17ROCPRIM_400000_NS6detail17trampoline_kernelINS0_14default_configENS1_22reduce_config_selectorIfEEZNS1_11reduce_implILb1ES3_PfS7_fN6thrust23THRUST_200600_302600_NS4plusIfEEEE10hipError_tPvRmT1_T2_T3_mT4_P12ihipStream_tbEUlT_E1_NS1_11comp_targetILNS1_3genE4ELNS1_11target_archE910ELNS1_3gpuE8ELNS1_3repE0EEENS1_30default_config_static_selectorELNS0_4arch9wavefront6targetE1EEEvSF_.num_agpr, 0
	.set _ZN7rocprim17ROCPRIM_400000_NS6detail17trampoline_kernelINS0_14default_configENS1_22reduce_config_selectorIfEEZNS1_11reduce_implILb1ES3_PfS7_fN6thrust23THRUST_200600_302600_NS4plusIfEEEE10hipError_tPvRmT1_T2_T3_mT4_P12ihipStream_tbEUlT_E1_NS1_11comp_targetILNS1_3genE4ELNS1_11target_archE910ELNS1_3gpuE8ELNS1_3repE0EEENS1_30default_config_static_selectorELNS0_4arch9wavefront6targetE1EEEvSF_.numbered_sgpr, 0
	.set _ZN7rocprim17ROCPRIM_400000_NS6detail17trampoline_kernelINS0_14default_configENS1_22reduce_config_selectorIfEEZNS1_11reduce_implILb1ES3_PfS7_fN6thrust23THRUST_200600_302600_NS4plusIfEEEE10hipError_tPvRmT1_T2_T3_mT4_P12ihipStream_tbEUlT_E1_NS1_11comp_targetILNS1_3genE4ELNS1_11target_archE910ELNS1_3gpuE8ELNS1_3repE0EEENS1_30default_config_static_selectorELNS0_4arch9wavefront6targetE1EEEvSF_.num_named_barrier, 0
	.set _ZN7rocprim17ROCPRIM_400000_NS6detail17trampoline_kernelINS0_14default_configENS1_22reduce_config_selectorIfEEZNS1_11reduce_implILb1ES3_PfS7_fN6thrust23THRUST_200600_302600_NS4plusIfEEEE10hipError_tPvRmT1_T2_T3_mT4_P12ihipStream_tbEUlT_E1_NS1_11comp_targetILNS1_3genE4ELNS1_11target_archE910ELNS1_3gpuE8ELNS1_3repE0EEENS1_30default_config_static_selectorELNS0_4arch9wavefront6targetE1EEEvSF_.private_seg_size, 0
	.set _ZN7rocprim17ROCPRIM_400000_NS6detail17trampoline_kernelINS0_14default_configENS1_22reduce_config_selectorIfEEZNS1_11reduce_implILb1ES3_PfS7_fN6thrust23THRUST_200600_302600_NS4plusIfEEEE10hipError_tPvRmT1_T2_T3_mT4_P12ihipStream_tbEUlT_E1_NS1_11comp_targetILNS1_3genE4ELNS1_11target_archE910ELNS1_3gpuE8ELNS1_3repE0EEENS1_30default_config_static_selectorELNS0_4arch9wavefront6targetE1EEEvSF_.uses_vcc, 0
	.set _ZN7rocprim17ROCPRIM_400000_NS6detail17trampoline_kernelINS0_14default_configENS1_22reduce_config_selectorIfEEZNS1_11reduce_implILb1ES3_PfS7_fN6thrust23THRUST_200600_302600_NS4plusIfEEEE10hipError_tPvRmT1_T2_T3_mT4_P12ihipStream_tbEUlT_E1_NS1_11comp_targetILNS1_3genE4ELNS1_11target_archE910ELNS1_3gpuE8ELNS1_3repE0EEENS1_30default_config_static_selectorELNS0_4arch9wavefront6targetE1EEEvSF_.uses_flat_scratch, 0
	.set _ZN7rocprim17ROCPRIM_400000_NS6detail17trampoline_kernelINS0_14default_configENS1_22reduce_config_selectorIfEEZNS1_11reduce_implILb1ES3_PfS7_fN6thrust23THRUST_200600_302600_NS4plusIfEEEE10hipError_tPvRmT1_T2_T3_mT4_P12ihipStream_tbEUlT_E1_NS1_11comp_targetILNS1_3genE4ELNS1_11target_archE910ELNS1_3gpuE8ELNS1_3repE0EEENS1_30default_config_static_selectorELNS0_4arch9wavefront6targetE1EEEvSF_.has_dyn_sized_stack, 0
	.set _ZN7rocprim17ROCPRIM_400000_NS6detail17trampoline_kernelINS0_14default_configENS1_22reduce_config_selectorIfEEZNS1_11reduce_implILb1ES3_PfS7_fN6thrust23THRUST_200600_302600_NS4plusIfEEEE10hipError_tPvRmT1_T2_T3_mT4_P12ihipStream_tbEUlT_E1_NS1_11comp_targetILNS1_3genE4ELNS1_11target_archE910ELNS1_3gpuE8ELNS1_3repE0EEENS1_30default_config_static_selectorELNS0_4arch9wavefront6targetE1EEEvSF_.has_recursion, 0
	.set _ZN7rocprim17ROCPRIM_400000_NS6detail17trampoline_kernelINS0_14default_configENS1_22reduce_config_selectorIfEEZNS1_11reduce_implILb1ES3_PfS7_fN6thrust23THRUST_200600_302600_NS4plusIfEEEE10hipError_tPvRmT1_T2_T3_mT4_P12ihipStream_tbEUlT_E1_NS1_11comp_targetILNS1_3genE4ELNS1_11target_archE910ELNS1_3gpuE8ELNS1_3repE0EEENS1_30default_config_static_selectorELNS0_4arch9wavefront6targetE1EEEvSF_.has_indirect_call, 0
	.section	.AMDGPU.csdata,"",@progbits
; Kernel info:
; codeLenInByte = 0
; TotalNumSgprs: 4
; NumVgprs: 0
; ScratchSize: 0
; MemoryBound: 0
; FloatMode: 240
; IeeeMode: 1
; LDSByteSize: 0 bytes/workgroup (compile time only)
; SGPRBlocks: 0
; VGPRBlocks: 0
; NumSGPRsForWavesPerEU: 4
; NumVGPRsForWavesPerEU: 1
; Occupancy: 10
; WaveLimiterHint : 0
; COMPUTE_PGM_RSRC2:SCRATCH_EN: 0
; COMPUTE_PGM_RSRC2:USER_SGPR: 6
; COMPUTE_PGM_RSRC2:TRAP_HANDLER: 0
; COMPUTE_PGM_RSRC2:TGID_X_EN: 1
; COMPUTE_PGM_RSRC2:TGID_Y_EN: 0
; COMPUTE_PGM_RSRC2:TGID_Z_EN: 0
; COMPUTE_PGM_RSRC2:TIDIG_COMP_CNT: 0
	.section	.text._ZN7rocprim17ROCPRIM_400000_NS6detail17trampoline_kernelINS0_14default_configENS1_22reduce_config_selectorIfEEZNS1_11reduce_implILb1ES3_PfS7_fN6thrust23THRUST_200600_302600_NS4plusIfEEEE10hipError_tPvRmT1_T2_T3_mT4_P12ihipStream_tbEUlT_E1_NS1_11comp_targetILNS1_3genE3ELNS1_11target_archE908ELNS1_3gpuE7ELNS1_3repE0EEENS1_30default_config_static_selectorELNS0_4arch9wavefront6targetE1EEEvSF_,"axG",@progbits,_ZN7rocprim17ROCPRIM_400000_NS6detail17trampoline_kernelINS0_14default_configENS1_22reduce_config_selectorIfEEZNS1_11reduce_implILb1ES3_PfS7_fN6thrust23THRUST_200600_302600_NS4plusIfEEEE10hipError_tPvRmT1_T2_T3_mT4_P12ihipStream_tbEUlT_E1_NS1_11comp_targetILNS1_3genE3ELNS1_11target_archE908ELNS1_3gpuE7ELNS1_3repE0EEENS1_30default_config_static_selectorELNS0_4arch9wavefront6targetE1EEEvSF_,comdat
	.protected	_ZN7rocprim17ROCPRIM_400000_NS6detail17trampoline_kernelINS0_14default_configENS1_22reduce_config_selectorIfEEZNS1_11reduce_implILb1ES3_PfS7_fN6thrust23THRUST_200600_302600_NS4plusIfEEEE10hipError_tPvRmT1_T2_T3_mT4_P12ihipStream_tbEUlT_E1_NS1_11comp_targetILNS1_3genE3ELNS1_11target_archE908ELNS1_3gpuE7ELNS1_3repE0EEENS1_30default_config_static_selectorELNS0_4arch9wavefront6targetE1EEEvSF_ ; -- Begin function _ZN7rocprim17ROCPRIM_400000_NS6detail17trampoline_kernelINS0_14default_configENS1_22reduce_config_selectorIfEEZNS1_11reduce_implILb1ES3_PfS7_fN6thrust23THRUST_200600_302600_NS4plusIfEEEE10hipError_tPvRmT1_T2_T3_mT4_P12ihipStream_tbEUlT_E1_NS1_11comp_targetILNS1_3genE3ELNS1_11target_archE908ELNS1_3gpuE7ELNS1_3repE0EEENS1_30default_config_static_selectorELNS0_4arch9wavefront6targetE1EEEvSF_
	.globl	_ZN7rocprim17ROCPRIM_400000_NS6detail17trampoline_kernelINS0_14default_configENS1_22reduce_config_selectorIfEEZNS1_11reduce_implILb1ES3_PfS7_fN6thrust23THRUST_200600_302600_NS4plusIfEEEE10hipError_tPvRmT1_T2_T3_mT4_P12ihipStream_tbEUlT_E1_NS1_11comp_targetILNS1_3genE3ELNS1_11target_archE908ELNS1_3gpuE7ELNS1_3repE0EEENS1_30default_config_static_selectorELNS0_4arch9wavefront6targetE1EEEvSF_
	.p2align	8
	.type	_ZN7rocprim17ROCPRIM_400000_NS6detail17trampoline_kernelINS0_14default_configENS1_22reduce_config_selectorIfEEZNS1_11reduce_implILb1ES3_PfS7_fN6thrust23THRUST_200600_302600_NS4plusIfEEEE10hipError_tPvRmT1_T2_T3_mT4_P12ihipStream_tbEUlT_E1_NS1_11comp_targetILNS1_3genE3ELNS1_11target_archE908ELNS1_3gpuE7ELNS1_3repE0EEENS1_30default_config_static_selectorELNS0_4arch9wavefront6targetE1EEEvSF_,@function
_ZN7rocprim17ROCPRIM_400000_NS6detail17trampoline_kernelINS0_14default_configENS1_22reduce_config_selectorIfEEZNS1_11reduce_implILb1ES3_PfS7_fN6thrust23THRUST_200600_302600_NS4plusIfEEEE10hipError_tPvRmT1_T2_T3_mT4_P12ihipStream_tbEUlT_E1_NS1_11comp_targetILNS1_3genE3ELNS1_11target_archE908ELNS1_3gpuE7ELNS1_3repE0EEENS1_30default_config_static_selectorELNS0_4arch9wavefront6targetE1EEEvSF_: ; @_ZN7rocprim17ROCPRIM_400000_NS6detail17trampoline_kernelINS0_14default_configENS1_22reduce_config_selectorIfEEZNS1_11reduce_implILb1ES3_PfS7_fN6thrust23THRUST_200600_302600_NS4plusIfEEEE10hipError_tPvRmT1_T2_T3_mT4_P12ihipStream_tbEUlT_E1_NS1_11comp_targetILNS1_3genE3ELNS1_11target_archE908ELNS1_3gpuE7ELNS1_3repE0EEENS1_30default_config_static_selectorELNS0_4arch9wavefront6targetE1EEEvSF_
; %bb.0:
	.section	.rodata,"a",@progbits
	.p2align	6, 0x0
	.amdhsa_kernel _ZN7rocprim17ROCPRIM_400000_NS6detail17trampoline_kernelINS0_14default_configENS1_22reduce_config_selectorIfEEZNS1_11reduce_implILb1ES3_PfS7_fN6thrust23THRUST_200600_302600_NS4plusIfEEEE10hipError_tPvRmT1_T2_T3_mT4_P12ihipStream_tbEUlT_E1_NS1_11comp_targetILNS1_3genE3ELNS1_11target_archE908ELNS1_3gpuE7ELNS1_3repE0EEENS1_30default_config_static_selectorELNS0_4arch9wavefront6targetE1EEEvSF_
		.amdhsa_group_segment_fixed_size 0
		.amdhsa_private_segment_fixed_size 0
		.amdhsa_kernarg_size 40
		.amdhsa_user_sgpr_count 6
		.amdhsa_user_sgpr_private_segment_buffer 1
		.amdhsa_user_sgpr_dispatch_ptr 0
		.amdhsa_user_sgpr_queue_ptr 0
		.amdhsa_user_sgpr_kernarg_segment_ptr 1
		.amdhsa_user_sgpr_dispatch_id 0
		.amdhsa_user_sgpr_flat_scratch_init 0
		.amdhsa_user_sgpr_private_segment_size 0
		.amdhsa_uses_dynamic_stack 0
		.amdhsa_system_sgpr_private_segment_wavefront_offset 0
		.amdhsa_system_sgpr_workgroup_id_x 1
		.amdhsa_system_sgpr_workgroup_id_y 0
		.amdhsa_system_sgpr_workgroup_id_z 0
		.amdhsa_system_sgpr_workgroup_info 0
		.amdhsa_system_vgpr_workitem_id 0
		.amdhsa_next_free_vgpr 1
		.amdhsa_next_free_sgpr 0
		.amdhsa_reserve_vcc 0
		.amdhsa_reserve_flat_scratch 0
		.amdhsa_float_round_mode_32 0
		.amdhsa_float_round_mode_16_64 0
		.amdhsa_float_denorm_mode_32 3
		.amdhsa_float_denorm_mode_16_64 3
		.amdhsa_dx10_clamp 1
		.amdhsa_ieee_mode 1
		.amdhsa_fp16_overflow 0
		.amdhsa_exception_fp_ieee_invalid_op 0
		.amdhsa_exception_fp_denorm_src 0
		.amdhsa_exception_fp_ieee_div_zero 0
		.amdhsa_exception_fp_ieee_overflow 0
		.amdhsa_exception_fp_ieee_underflow 0
		.amdhsa_exception_fp_ieee_inexact 0
		.amdhsa_exception_int_div_zero 0
	.end_amdhsa_kernel
	.section	.text._ZN7rocprim17ROCPRIM_400000_NS6detail17trampoline_kernelINS0_14default_configENS1_22reduce_config_selectorIfEEZNS1_11reduce_implILb1ES3_PfS7_fN6thrust23THRUST_200600_302600_NS4plusIfEEEE10hipError_tPvRmT1_T2_T3_mT4_P12ihipStream_tbEUlT_E1_NS1_11comp_targetILNS1_3genE3ELNS1_11target_archE908ELNS1_3gpuE7ELNS1_3repE0EEENS1_30default_config_static_selectorELNS0_4arch9wavefront6targetE1EEEvSF_,"axG",@progbits,_ZN7rocprim17ROCPRIM_400000_NS6detail17trampoline_kernelINS0_14default_configENS1_22reduce_config_selectorIfEEZNS1_11reduce_implILb1ES3_PfS7_fN6thrust23THRUST_200600_302600_NS4plusIfEEEE10hipError_tPvRmT1_T2_T3_mT4_P12ihipStream_tbEUlT_E1_NS1_11comp_targetILNS1_3genE3ELNS1_11target_archE908ELNS1_3gpuE7ELNS1_3repE0EEENS1_30default_config_static_selectorELNS0_4arch9wavefront6targetE1EEEvSF_,comdat
.Lfunc_end12:
	.size	_ZN7rocprim17ROCPRIM_400000_NS6detail17trampoline_kernelINS0_14default_configENS1_22reduce_config_selectorIfEEZNS1_11reduce_implILb1ES3_PfS7_fN6thrust23THRUST_200600_302600_NS4plusIfEEEE10hipError_tPvRmT1_T2_T3_mT4_P12ihipStream_tbEUlT_E1_NS1_11comp_targetILNS1_3genE3ELNS1_11target_archE908ELNS1_3gpuE7ELNS1_3repE0EEENS1_30default_config_static_selectorELNS0_4arch9wavefront6targetE1EEEvSF_, .Lfunc_end12-_ZN7rocprim17ROCPRIM_400000_NS6detail17trampoline_kernelINS0_14default_configENS1_22reduce_config_selectorIfEEZNS1_11reduce_implILb1ES3_PfS7_fN6thrust23THRUST_200600_302600_NS4plusIfEEEE10hipError_tPvRmT1_T2_T3_mT4_P12ihipStream_tbEUlT_E1_NS1_11comp_targetILNS1_3genE3ELNS1_11target_archE908ELNS1_3gpuE7ELNS1_3repE0EEENS1_30default_config_static_selectorELNS0_4arch9wavefront6targetE1EEEvSF_
                                        ; -- End function
	.set _ZN7rocprim17ROCPRIM_400000_NS6detail17trampoline_kernelINS0_14default_configENS1_22reduce_config_selectorIfEEZNS1_11reduce_implILb1ES3_PfS7_fN6thrust23THRUST_200600_302600_NS4plusIfEEEE10hipError_tPvRmT1_T2_T3_mT4_P12ihipStream_tbEUlT_E1_NS1_11comp_targetILNS1_3genE3ELNS1_11target_archE908ELNS1_3gpuE7ELNS1_3repE0EEENS1_30default_config_static_selectorELNS0_4arch9wavefront6targetE1EEEvSF_.num_vgpr, 0
	.set _ZN7rocprim17ROCPRIM_400000_NS6detail17trampoline_kernelINS0_14default_configENS1_22reduce_config_selectorIfEEZNS1_11reduce_implILb1ES3_PfS7_fN6thrust23THRUST_200600_302600_NS4plusIfEEEE10hipError_tPvRmT1_T2_T3_mT4_P12ihipStream_tbEUlT_E1_NS1_11comp_targetILNS1_3genE3ELNS1_11target_archE908ELNS1_3gpuE7ELNS1_3repE0EEENS1_30default_config_static_selectorELNS0_4arch9wavefront6targetE1EEEvSF_.num_agpr, 0
	.set _ZN7rocprim17ROCPRIM_400000_NS6detail17trampoline_kernelINS0_14default_configENS1_22reduce_config_selectorIfEEZNS1_11reduce_implILb1ES3_PfS7_fN6thrust23THRUST_200600_302600_NS4plusIfEEEE10hipError_tPvRmT1_T2_T3_mT4_P12ihipStream_tbEUlT_E1_NS1_11comp_targetILNS1_3genE3ELNS1_11target_archE908ELNS1_3gpuE7ELNS1_3repE0EEENS1_30default_config_static_selectorELNS0_4arch9wavefront6targetE1EEEvSF_.numbered_sgpr, 0
	.set _ZN7rocprim17ROCPRIM_400000_NS6detail17trampoline_kernelINS0_14default_configENS1_22reduce_config_selectorIfEEZNS1_11reduce_implILb1ES3_PfS7_fN6thrust23THRUST_200600_302600_NS4plusIfEEEE10hipError_tPvRmT1_T2_T3_mT4_P12ihipStream_tbEUlT_E1_NS1_11comp_targetILNS1_3genE3ELNS1_11target_archE908ELNS1_3gpuE7ELNS1_3repE0EEENS1_30default_config_static_selectorELNS0_4arch9wavefront6targetE1EEEvSF_.num_named_barrier, 0
	.set _ZN7rocprim17ROCPRIM_400000_NS6detail17trampoline_kernelINS0_14default_configENS1_22reduce_config_selectorIfEEZNS1_11reduce_implILb1ES3_PfS7_fN6thrust23THRUST_200600_302600_NS4plusIfEEEE10hipError_tPvRmT1_T2_T3_mT4_P12ihipStream_tbEUlT_E1_NS1_11comp_targetILNS1_3genE3ELNS1_11target_archE908ELNS1_3gpuE7ELNS1_3repE0EEENS1_30default_config_static_selectorELNS0_4arch9wavefront6targetE1EEEvSF_.private_seg_size, 0
	.set _ZN7rocprim17ROCPRIM_400000_NS6detail17trampoline_kernelINS0_14default_configENS1_22reduce_config_selectorIfEEZNS1_11reduce_implILb1ES3_PfS7_fN6thrust23THRUST_200600_302600_NS4plusIfEEEE10hipError_tPvRmT1_T2_T3_mT4_P12ihipStream_tbEUlT_E1_NS1_11comp_targetILNS1_3genE3ELNS1_11target_archE908ELNS1_3gpuE7ELNS1_3repE0EEENS1_30default_config_static_selectorELNS0_4arch9wavefront6targetE1EEEvSF_.uses_vcc, 0
	.set _ZN7rocprim17ROCPRIM_400000_NS6detail17trampoline_kernelINS0_14default_configENS1_22reduce_config_selectorIfEEZNS1_11reduce_implILb1ES3_PfS7_fN6thrust23THRUST_200600_302600_NS4plusIfEEEE10hipError_tPvRmT1_T2_T3_mT4_P12ihipStream_tbEUlT_E1_NS1_11comp_targetILNS1_3genE3ELNS1_11target_archE908ELNS1_3gpuE7ELNS1_3repE0EEENS1_30default_config_static_selectorELNS0_4arch9wavefront6targetE1EEEvSF_.uses_flat_scratch, 0
	.set _ZN7rocprim17ROCPRIM_400000_NS6detail17trampoline_kernelINS0_14default_configENS1_22reduce_config_selectorIfEEZNS1_11reduce_implILb1ES3_PfS7_fN6thrust23THRUST_200600_302600_NS4plusIfEEEE10hipError_tPvRmT1_T2_T3_mT4_P12ihipStream_tbEUlT_E1_NS1_11comp_targetILNS1_3genE3ELNS1_11target_archE908ELNS1_3gpuE7ELNS1_3repE0EEENS1_30default_config_static_selectorELNS0_4arch9wavefront6targetE1EEEvSF_.has_dyn_sized_stack, 0
	.set _ZN7rocprim17ROCPRIM_400000_NS6detail17trampoline_kernelINS0_14default_configENS1_22reduce_config_selectorIfEEZNS1_11reduce_implILb1ES3_PfS7_fN6thrust23THRUST_200600_302600_NS4plusIfEEEE10hipError_tPvRmT1_T2_T3_mT4_P12ihipStream_tbEUlT_E1_NS1_11comp_targetILNS1_3genE3ELNS1_11target_archE908ELNS1_3gpuE7ELNS1_3repE0EEENS1_30default_config_static_selectorELNS0_4arch9wavefront6targetE1EEEvSF_.has_recursion, 0
	.set _ZN7rocprim17ROCPRIM_400000_NS6detail17trampoline_kernelINS0_14default_configENS1_22reduce_config_selectorIfEEZNS1_11reduce_implILb1ES3_PfS7_fN6thrust23THRUST_200600_302600_NS4plusIfEEEE10hipError_tPvRmT1_T2_T3_mT4_P12ihipStream_tbEUlT_E1_NS1_11comp_targetILNS1_3genE3ELNS1_11target_archE908ELNS1_3gpuE7ELNS1_3repE0EEENS1_30default_config_static_selectorELNS0_4arch9wavefront6targetE1EEEvSF_.has_indirect_call, 0
	.section	.AMDGPU.csdata,"",@progbits
; Kernel info:
; codeLenInByte = 0
; TotalNumSgprs: 4
; NumVgprs: 0
; ScratchSize: 0
; MemoryBound: 0
; FloatMode: 240
; IeeeMode: 1
; LDSByteSize: 0 bytes/workgroup (compile time only)
; SGPRBlocks: 0
; VGPRBlocks: 0
; NumSGPRsForWavesPerEU: 4
; NumVGPRsForWavesPerEU: 1
; Occupancy: 10
; WaveLimiterHint : 0
; COMPUTE_PGM_RSRC2:SCRATCH_EN: 0
; COMPUTE_PGM_RSRC2:USER_SGPR: 6
; COMPUTE_PGM_RSRC2:TRAP_HANDLER: 0
; COMPUTE_PGM_RSRC2:TGID_X_EN: 1
; COMPUTE_PGM_RSRC2:TGID_Y_EN: 0
; COMPUTE_PGM_RSRC2:TGID_Z_EN: 0
; COMPUTE_PGM_RSRC2:TIDIG_COMP_CNT: 0
	.section	.text._ZN7rocprim17ROCPRIM_400000_NS6detail17trampoline_kernelINS0_14default_configENS1_22reduce_config_selectorIfEEZNS1_11reduce_implILb1ES3_PfS7_fN6thrust23THRUST_200600_302600_NS4plusIfEEEE10hipError_tPvRmT1_T2_T3_mT4_P12ihipStream_tbEUlT_E1_NS1_11comp_targetILNS1_3genE2ELNS1_11target_archE906ELNS1_3gpuE6ELNS1_3repE0EEENS1_30default_config_static_selectorELNS0_4arch9wavefront6targetE1EEEvSF_,"axG",@progbits,_ZN7rocprim17ROCPRIM_400000_NS6detail17trampoline_kernelINS0_14default_configENS1_22reduce_config_selectorIfEEZNS1_11reduce_implILb1ES3_PfS7_fN6thrust23THRUST_200600_302600_NS4plusIfEEEE10hipError_tPvRmT1_T2_T3_mT4_P12ihipStream_tbEUlT_E1_NS1_11comp_targetILNS1_3genE2ELNS1_11target_archE906ELNS1_3gpuE6ELNS1_3repE0EEENS1_30default_config_static_selectorELNS0_4arch9wavefront6targetE1EEEvSF_,comdat
	.protected	_ZN7rocprim17ROCPRIM_400000_NS6detail17trampoline_kernelINS0_14default_configENS1_22reduce_config_selectorIfEEZNS1_11reduce_implILb1ES3_PfS7_fN6thrust23THRUST_200600_302600_NS4plusIfEEEE10hipError_tPvRmT1_T2_T3_mT4_P12ihipStream_tbEUlT_E1_NS1_11comp_targetILNS1_3genE2ELNS1_11target_archE906ELNS1_3gpuE6ELNS1_3repE0EEENS1_30default_config_static_selectorELNS0_4arch9wavefront6targetE1EEEvSF_ ; -- Begin function _ZN7rocprim17ROCPRIM_400000_NS6detail17trampoline_kernelINS0_14default_configENS1_22reduce_config_selectorIfEEZNS1_11reduce_implILb1ES3_PfS7_fN6thrust23THRUST_200600_302600_NS4plusIfEEEE10hipError_tPvRmT1_T2_T3_mT4_P12ihipStream_tbEUlT_E1_NS1_11comp_targetILNS1_3genE2ELNS1_11target_archE906ELNS1_3gpuE6ELNS1_3repE0EEENS1_30default_config_static_selectorELNS0_4arch9wavefront6targetE1EEEvSF_
	.globl	_ZN7rocprim17ROCPRIM_400000_NS6detail17trampoline_kernelINS0_14default_configENS1_22reduce_config_selectorIfEEZNS1_11reduce_implILb1ES3_PfS7_fN6thrust23THRUST_200600_302600_NS4plusIfEEEE10hipError_tPvRmT1_T2_T3_mT4_P12ihipStream_tbEUlT_E1_NS1_11comp_targetILNS1_3genE2ELNS1_11target_archE906ELNS1_3gpuE6ELNS1_3repE0EEENS1_30default_config_static_selectorELNS0_4arch9wavefront6targetE1EEEvSF_
	.p2align	8
	.type	_ZN7rocprim17ROCPRIM_400000_NS6detail17trampoline_kernelINS0_14default_configENS1_22reduce_config_selectorIfEEZNS1_11reduce_implILb1ES3_PfS7_fN6thrust23THRUST_200600_302600_NS4plusIfEEEE10hipError_tPvRmT1_T2_T3_mT4_P12ihipStream_tbEUlT_E1_NS1_11comp_targetILNS1_3genE2ELNS1_11target_archE906ELNS1_3gpuE6ELNS1_3repE0EEENS1_30default_config_static_selectorELNS0_4arch9wavefront6targetE1EEEvSF_,@function
_ZN7rocprim17ROCPRIM_400000_NS6detail17trampoline_kernelINS0_14default_configENS1_22reduce_config_selectorIfEEZNS1_11reduce_implILb1ES3_PfS7_fN6thrust23THRUST_200600_302600_NS4plusIfEEEE10hipError_tPvRmT1_T2_T3_mT4_P12ihipStream_tbEUlT_E1_NS1_11comp_targetILNS1_3genE2ELNS1_11target_archE906ELNS1_3gpuE6ELNS1_3repE0EEENS1_30default_config_static_selectorELNS0_4arch9wavefront6targetE1EEEvSF_: ; @_ZN7rocprim17ROCPRIM_400000_NS6detail17trampoline_kernelINS0_14default_configENS1_22reduce_config_selectorIfEEZNS1_11reduce_implILb1ES3_PfS7_fN6thrust23THRUST_200600_302600_NS4plusIfEEEE10hipError_tPvRmT1_T2_T3_mT4_P12ihipStream_tbEUlT_E1_NS1_11comp_targetILNS1_3genE2ELNS1_11target_archE906ELNS1_3gpuE6ELNS1_3repE0EEENS1_30default_config_static_selectorELNS0_4arch9wavefront6targetE1EEEvSF_
; %bb.0:
	s_load_dword s33, s[4:5], 0x4
	s_load_dwordx4 s[68:71], s[4:5], 0x8
	s_waitcnt lgkmcnt(0)
	s_cmp_lt_i32 s33, 8
	s_cbranch_scc1 .LBB13_11
; %bb.1:
	s_cmp_gt_i32 s33, 15
	s_cbranch_scc0 .LBB13_12
; %bb.2:
	s_cmp_gt_i32 s33, 31
	s_cbranch_scc0 .LBB13_13
; %bb.3:
	s_cmp_eq_u32 s33, 32
	s_mov_b64 s[66:67], 0
	s_cbranch_scc0 .LBB13_14
; %bb.4:
	s_mov_b32 s7, 0
	s_lshl_b32 s0, s6, 13
	s_mov_b32 s1, s7
	s_lshr_b64 s[2:3], s[70:71], 13
	s_lshl_b64 s[8:9], s[0:1], 2
	s_add_u32 s72, s68, s8
	s_addc_u32 s73, s69, s9
	s_cmp_lg_u64 s[2:3], s[6:7]
	s_cbranch_scc0 .LBB13_23
; %bb.5:
	v_lshlrev_b32_e32 v7, 2, v0
	v_mov_b32_e32 v1, s73
	v_add_co_u32_e32 v8, vcc, s72, v7
	v_addc_co_u32_e32 v9, vcc, 0, v1, vcc
	v_add_co_u32_e32 v1, vcc, 0x1000, v8
	v_addc_co_u32_e32 v2, vcc, 0, v9, vcc
	;; [unrolled: 2-line block ×4, first 2 shown]
	global_load_dword v10, v[3:4], off
	global_load_dword v11, v[3:4], off offset:1024
	global_load_dword v12, v[3:4], off offset:2048
	;; [unrolled: 1-line block ×3, first 2 shown]
	global_load_dword v14, v[5:6], off
	global_load_dword v15, v[5:6], off offset:1024
	global_load_dword v16, v[5:6], off offset:2048
	;; [unrolled: 1-line block ×3, first 2 shown]
	v_add_co_u32_e32 v3, vcc, 0x4000, v8
	v_addc_co_u32_e32 v4, vcc, 0, v9, vcc
	v_add_co_u32_e32 v5, vcc, 0x5000, v8
	v_addc_co_u32_e32 v6, vcc, 0, v9, vcc
	global_load_dword v18, v[3:4], off
	global_load_dword v19, v[3:4], off offset:1024
	global_load_dword v20, v[3:4], off offset:2048
	;; [unrolled: 1-line block ×3, first 2 shown]
	global_load_dword v22, v[5:6], off
	global_load_dword v23, v[5:6], off offset:1024
	global_load_dword v24, v[5:6], off offset:2048
	global_load_dword v25, v[5:6], off offset:3072
	v_add_co_u32_e32 v3, vcc, 0x6000, v8
	v_addc_co_u32_e32 v4, vcc, 0, v9, vcc
	v_add_co_u32_e32 v5, vcc, 0x7000, v8
	v_addc_co_u32_e32 v6, vcc, 0, v9, vcc
	global_load_dword v8, v[3:4], off
	global_load_dword v9, v[3:4], off offset:1024
	global_load_dword v26, v[3:4], off offset:2048
	;; [unrolled: 1-line block ×3, first 2 shown]
	global_load_dword v28, v[5:6], off
	global_load_dword v29, v[5:6], off offset:1024
	global_load_dword v30, v[5:6], off offset:2048
	;; [unrolled: 1-line block ×3, first 2 shown]
	global_load_dword v32, v7, s[72:73]
	global_load_dword v33, v[1:2], off
	global_load_dword v34, v[1:2], off offset:1024
	global_load_dword v35, v[1:2], off offset:2048
	;; [unrolled: 1-line block ×3, first 2 shown]
	global_load_dword v37, v7, s[72:73] offset:1024
	global_load_dword v38, v7, s[72:73] offset:2048
                                        ; kill: killed $vgpr5 killed $vgpr6
                                        ; kill: killed $vgpr1 killed $vgpr2
                                        ; kill: killed $vgpr3 killed $vgpr4
	s_nop 0
	global_load_dword v1, v7, s[72:73] offset:3072
	s_waitcnt vmcnt(2)
	v_add_f32_e32 v2, v32, v37
	s_waitcnt vmcnt(1)
	v_add_f32_e32 v3, v2, v38
	v_mbcnt_lo_u32_b32 v2, -1, 0
	v_mbcnt_hi_u32_b32 v2, -1, v2
	v_cmp_eq_u32_e32 vcc, 0, v2
	s_waitcnt vmcnt(0)
	v_add_f32_e32 v1, v3, v1
	v_add_f32_e32 v1, v1, v33
	;; [unrolled: 1-line block ×29, first 2 shown]
	v_lshlrev_b32_e32 v3, 2, v2
	v_or_b32_e32 v4, 0xfc, v3
	v_add_f32_dpp v1, v1, v1 quad_perm:[1,0,3,2] row_mask:0xf bank_mask:0xf bound_ctrl:1
	s_nop 1
	v_add_f32_dpp v1, v1, v1 quad_perm:[2,3,0,1] row_mask:0xf bank_mask:0xf bound_ctrl:1
	s_nop 1
	v_add_f32_dpp v1, v1, v1 row_ror:4 row_mask:0xf bank_mask:0xf bound_ctrl:1
	s_nop 1
	v_add_f32_dpp v1, v1, v1 row_ror:8 row_mask:0xf bank_mask:0xf bound_ctrl:1
	s_nop 1
	v_add_f32_dpp v1, v1, v1 row_bcast:15 row_mask:0xf bank_mask:0xf bound_ctrl:1
	s_nop 1
	v_add_f32_dpp v1, v1, v1 row_bcast:31 row_mask:0xf bank_mask:0xf bound_ctrl:1
	ds_bpermute_b32 v1, v4, v1
	s_and_saveexec_b64 s[2:3], vcc
	s_cbranch_execz .LBB13_7
; %bb.6:
	v_lshrrev_b32_e32 v4, 4, v0
	v_and_b32_e32 v4, 12, v4
	s_waitcnt lgkmcnt(0)
	ds_write_b32 v4, v1 offset:48
.LBB13_7:
	s_or_b64 exec, exec, s[2:3]
	v_cmp_gt_u32_e32 vcc, 64, v0
	s_waitcnt lgkmcnt(0)
	s_barrier
	s_and_saveexec_b64 s[2:3], vcc
	s_cbranch_execz .LBB13_9
; %bb.8:
	v_and_b32_e32 v1, 3, v2
	v_lshlrev_b32_e32 v4, 2, v1
	ds_read_b32 v4, v4 offset:48
	v_cmp_ne_u32_e32 vcc, 3, v1
	v_addc_co_u32_e32 v1, vcc, 0, v2, vcc
	v_lshlrev_b32_e32 v1, 2, v1
	s_waitcnt lgkmcnt(0)
	ds_bpermute_b32 v1, v1, v4
	v_or_b32_e32 v2, 8, v3
	s_waitcnt lgkmcnt(0)
	v_add_f32_e32 v1, v4, v1
	ds_bpermute_b32 v2, v2, v1
	s_waitcnt lgkmcnt(0)
	v_add_f32_e32 v1, v1, v2
.LBB13_9:
	s_or_b64 exec, exec, s[2:3]
.LBB13_10:
	v_cmp_eq_u32_e64 s[0:1], 0, v0
	s_and_b64 vcc, exec, s[66:67]
	s_cbranch_vccnz .LBB13_15
	s_branch .LBB13_93
.LBB13_11:
	s_mov_b64 s[0:1], 0
                                        ; implicit-def: $vgpr1
	s_cbranch_execnz .LBB13_166
	s_branch .LBB13_224
.LBB13_12:
	s_mov_b64 s[0:1], 0
                                        ; implicit-def: $vgpr1
	s_cbranch_execnz .LBB13_134
	s_branch .LBB13_142
.LBB13_13:
	s_mov_b64 s[66:67], -1
.LBB13_14:
	s_mov_b64 s[0:1], 0
                                        ; implicit-def: $vgpr1
	s_and_b64 vcc, exec, s[66:67]
	s_cbranch_vccz .LBB13_93
.LBB13_15:
	s_cmp_eq_u32 s33, 16
	s_cbranch_scc0 .LBB13_22
; %bb.16:
	s_mov_b32 s7, 0
	s_lshl_b32 s0, s6, 12
	s_mov_b32 s1, s7
	s_lshr_b64 s[2:3], s[70:71], 12
	s_lshl_b64 s[8:9], s[0:1], 2
	s_add_u32 s34, s68, s8
	s_addc_u32 s35, s69, s9
	s_cmp_lg_u64 s[2:3], s[6:7]
	s_cbranch_scc0 .LBB13_94
; %bb.17:
	v_lshlrev_b32_e32 v3, 2, v0
	v_mov_b32_e32 v1, s35
	v_add_co_u32_e32 v4, vcc, s34, v3
	v_addc_co_u32_e32 v5, vcc, 0, v1, vcc
	v_add_co_u32_e32 v1, vcc, 0x1000, v4
	v_addc_co_u32_e32 v2, vcc, 0, v5, vcc
	global_load_dword v6, v3, s[34:35]
	global_load_dword v7, v3, s[34:35] offset:1024
	global_load_dword v8, v3, s[34:35] offset:2048
	;; [unrolled: 1-line block ×3, first 2 shown]
	global_load_dword v10, v[1:2], off
	global_load_dword v11, v[1:2], off offset:1024
	global_load_dword v12, v[1:2], off offset:2048
	;; [unrolled: 1-line block ×3, first 2 shown]
	v_add_co_u32_e32 v1, vcc, 0x2000, v4
	v_addc_co_u32_e32 v2, vcc, 0, v5, vcc
	v_add_co_u32_e32 v3, vcc, 0x3000, v4
	v_addc_co_u32_e32 v4, vcc, 0, v5, vcc
	global_load_dword v5, v[1:2], off
	global_load_dword v14, v[1:2], off offset:1024
	global_load_dword v15, v[1:2], off offset:2048
	;; [unrolled: 1-line block ×3, first 2 shown]
	global_load_dword v17, v[3:4], off
	global_load_dword v18, v[3:4], off offset:1024
	global_load_dword v19, v[3:4], off offset:2048
	;; [unrolled: 1-line block ×3, first 2 shown]
	v_mbcnt_lo_u32_b32 v1, -1, 0
	v_mbcnt_hi_u32_b32 v2, -1, v1
	v_lshlrev_b32_e32 v3, 2, v2
	v_or_b32_e32 v4, 0xfc, v3
	v_cmp_eq_u32_e32 vcc, 0, v2
	s_waitcnt vmcnt(14)
	v_add_f32_e32 v1, v6, v7
	s_waitcnt vmcnt(13)
	v_add_f32_e32 v1, v1, v8
	;; [unrolled: 2-line block ×15, first 2 shown]
	s_nop 1
	v_add_f32_dpp v1, v1, v1 quad_perm:[1,0,3,2] row_mask:0xf bank_mask:0xf bound_ctrl:1
	s_nop 1
	v_add_f32_dpp v1, v1, v1 quad_perm:[2,3,0,1] row_mask:0xf bank_mask:0xf bound_ctrl:1
	s_nop 1
	v_add_f32_dpp v1, v1, v1 row_ror:4 row_mask:0xf bank_mask:0xf bound_ctrl:1
	s_nop 1
	v_add_f32_dpp v1, v1, v1 row_ror:8 row_mask:0xf bank_mask:0xf bound_ctrl:1
	s_nop 1
	v_add_f32_dpp v1, v1, v1 row_bcast:15 row_mask:0xf bank_mask:0xf bound_ctrl:1
	s_nop 1
	v_add_f32_dpp v1, v1, v1 row_bcast:31 row_mask:0xf bank_mask:0xf bound_ctrl:1
	ds_bpermute_b32 v1, v4, v1
	s_and_saveexec_b64 s[2:3], vcc
	s_cbranch_execz .LBB13_19
; %bb.18:
	v_lshrrev_b32_e32 v4, 4, v0
	v_and_b32_e32 v4, 12, v4
	s_waitcnt lgkmcnt(0)
	ds_write_b32 v4, v1
.LBB13_19:
	s_or_b64 exec, exec, s[2:3]
	v_cmp_gt_u32_e32 vcc, 64, v0
	s_waitcnt lgkmcnt(0)
	s_barrier
	s_and_saveexec_b64 s[2:3], vcc
	s_cbranch_execz .LBB13_21
; %bb.20:
	v_and_b32_e32 v1, 3, v2
	v_lshlrev_b32_e32 v4, 2, v1
	ds_read_b32 v4, v4
	v_cmp_ne_u32_e32 vcc, 3, v1
	v_addc_co_u32_e32 v1, vcc, 0, v2, vcc
	v_lshlrev_b32_e32 v1, 2, v1
	s_waitcnt lgkmcnt(0)
	ds_bpermute_b32 v1, v1, v4
	v_or_b32_e32 v2, 8, v3
	s_waitcnt lgkmcnt(0)
	v_add_f32_e32 v1, v4, v1
	ds_bpermute_b32 v2, v2, v1
	s_waitcnt lgkmcnt(0)
	v_add_f32_e32 v1, v1, v2
.LBB13_21:
	s_or_b64 exec, exec, s[2:3]
	s_mov_b64 s[2:3], 0
	s_branch .LBB13_95
.LBB13_22:
                                        ; implicit-def: $vgpr1
	s_branch .LBB13_142
.LBB13_23:
                                        ; implicit-def: $vgpr1
	s_cbranch_execz .LBB13_10
; %bb.24:
	s_sub_i32 s76, s70, s0
	v_cmp_gt_u32_e32 vcc, s76, v0
                                        ; implicit-def: $vgpr1
	s_and_saveexec_b64 s[0:1], vcc
	s_cbranch_execz .LBB13_26
; %bb.25:
	v_lshlrev_b32_e32 v1, 2, v0
	global_load_dword v1, v1, s[72:73]
.LBB13_26:
	s_or_b64 exec, exec, s[0:1]
	v_or_b32_e32 v2, 0x100, v0
	v_cmp_gt_u32_e32 vcc, s76, v2
                                        ; implicit-def: $vgpr2
	s_and_saveexec_b64 s[0:1], vcc
	s_cbranch_execz .LBB13_28
; %bb.27:
	v_lshlrev_b32_e32 v2, 2, v0
	global_load_dword v2, v2, s[72:73] offset:1024
.LBB13_28:
	s_or_b64 exec, exec, s[0:1]
	v_or_b32_e32 v3, 0x200, v0
	v_cmp_gt_u32_e64 s[0:1], s76, v3
                                        ; implicit-def: $vgpr3
	s_and_saveexec_b64 s[2:3], s[0:1]
	s_cbranch_execz .LBB13_30
; %bb.29:
	v_lshlrev_b32_e32 v3, 2, v0
	global_load_dword v3, v3, s[72:73] offset:2048
.LBB13_30:
	s_or_b64 exec, exec, s[2:3]
	v_or_b32_e32 v4, 0x300, v0
	v_cmp_gt_u32_e64 s[2:3], s76, v4
                                        ; implicit-def: $vgpr4
	s_and_saveexec_b64 s[8:9], s[2:3]
	s_cbranch_execz .LBB13_32
; %bb.31:
	v_lshlrev_b32_e32 v4, 2, v0
	global_load_dword v4, v4, s[72:73] offset:3072
.LBB13_32:
	s_or_b64 exec, exec, s[8:9]
	v_or_b32_e32 v6, 0x400, v0
	v_cmp_gt_u32_e64 s[8:9], s76, v6
                                        ; implicit-def: $vgpr5
	s_and_saveexec_b64 s[10:11], s[8:9]
	s_cbranch_execz .LBB13_34
; %bb.33:
	v_lshlrev_b32_e32 v5, 2, v6
	global_load_dword v5, v5, s[72:73]
.LBB13_34:
	s_or_b64 exec, exec, s[10:11]
	v_or_b32_e32 v7, 0x500, v0
	v_cmp_gt_u32_e64 s[10:11], s76, v7
                                        ; implicit-def: $vgpr6
	s_and_saveexec_b64 s[12:13], s[10:11]
	s_cbranch_execz .LBB13_36
; %bb.35:
	v_lshlrev_b32_e32 v6, 2, v7
	global_load_dword v6, v6, s[72:73]
.LBB13_36:
	s_or_b64 exec, exec, s[12:13]
	v_or_b32_e32 v8, 0x600, v0
	v_cmp_gt_u32_e64 s[12:13], s76, v8
                                        ; implicit-def: $vgpr7
	s_and_saveexec_b64 s[14:15], s[12:13]
	s_cbranch_execz .LBB13_38
; %bb.37:
	v_lshlrev_b32_e32 v7, 2, v8
	global_load_dword v7, v7, s[72:73]
.LBB13_38:
	s_or_b64 exec, exec, s[14:15]
	v_or_b32_e32 v9, 0x700, v0
	v_cmp_gt_u32_e64 s[14:15], s76, v9
                                        ; implicit-def: $vgpr8
	s_and_saveexec_b64 s[16:17], s[14:15]
	s_cbranch_execz .LBB13_40
; %bb.39:
	v_lshlrev_b32_e32 v8, 2, v9
	global_load_dword v8, v8, s[72:73]
.LBB13_40:
	s_or_b64 exec, exec, s[16:17]
	v_or_b32_e32 v10, 0x800, v0
	v_cmp_gt_u32_e64 s[16:17], s76, v10
                                        ; implicit-def: $vgpr9
	s_and_saveexec_b64 s[18:19], s[16:17]
	s_cbranch_execz .LBB13_42
; %bb.41:
	v_lshlrev_b32_e32 v9, 2, v10
	global_load_dword v9, v9, s[72:73]
.LBB13_42:
	s_or_b64 exec, exec, s[18:19]
	v_or_b32_e32 v11, 0x900, v0
	v_cmp_gt_u32_e64 s[18:19], s76, v11
                                        ; implicit-def: $vgpr10
	s_and_saveexec_b64 s[20:21], s[18:19]
	s_cbranch_execz .LBB13_44
; %bb.43:
	v_lshlrev_b32_e32 v10, 2, v11
	global_load_dword v10, v10, s[72:73]
.LBB13_44:
	s_or_b64 exec, exec, s[20:21]
	v_or_b32_e32 v12, 0xa00, v0
	v_cmp_gt_u32_e64 s[20:21], s76, v12
                                        ; implicit-def: $vgpr11
	s_and_saveexec_b64 s[22:23], s[20:21]
	s_cbranch_execz .LBB13_46
; %bb.45:
	v_lshlrev_b32_e32 v11, 2, v12
	global_load_dword v11, v11, s[72:73]
.LBB13_46:
	s_or_b64 exec, exec, s[22:23]
	v_or_b32_e32 v13, 0xb00, v0
	v_cmp_gt_u32_e64 s[22:23], s76, v13
                                        ; implicit-def: $vgpr12
	s_and_saveexec_b64 s[24:25], s[22:23]
	s_cbranch_execz .LBB13_48
; %bb.47:
	v_lshlrev_b32_e32 v12, 2, v13
	global_load_dword v12, v12, s[72:73]
.LBB13_48:
	s_or_b64 exec, exec, s[24:25]
	v_or_b32_e32 v14, 0xc00, v0
	v_cmp_gt_u32_e64 s[24:25], s76, v14
                                        ; implicit-def: $vgpr13
	s_and_saveexec_b64 s[26:27], s[24:25]
	s_cbranch_execz .LBB13_50
; %bb.49:
	v_lshlrev_b32_e32 v13, 2, v14
	global_load_dword v13, v13, s[72:73]
.LBB13_50:
	s_or_b64 exec, exec, s[26:27]
	v_or_b32_e32 v15, 0xd00, v0
	v_cmp_gt_u32_e64 s[26:27], s76, v15
                                        ; implicit-def: $vgpr14
	s_and_saveexec_b64 s[28:29], s[26:27]
	s_cbranch_execz .LBB13_52
; %bb.51:
	v_lshlrev_b32_e32 v14, 2, v15
	global_load_dword v14, v14, s[72:73]
.LBB13_52:
	s_or_b64 exec, exec, s[28:29]
	v_or_b32_e32 v16, 0xe00, v0
	v_cmp_gt_u32_e64 s[28:29], s76, v16
                                        ; implicit-def: $vgpr15
	s_and_saveexec_b64 s[30:31], s[28:29]
	s_cbranch_execz .LBB13_54
; %bb.53:
	v_lshlrev_b32_e32 v15, 2, v16
	global_load_dword v15, v15, s[72:73]
.LBB13_54:
	s_or_b64 exec, exec, s[30:31]
	v_or_b32_e32 v17, 0xf00, v0
	v_cmp_gt_u32_e64 s[30:31], s76, v17
                                        ; implicit-def: $vgpr16
	s_and_saveexec_b64 s[34:35], s[30:31]
	s_cbranch_execz .LBB13_56
; %bb.55:
	v_lshlrev_b32_e32 v16, 2, v17
	global_load_dword v16, v16, s[72:73]
.LBB13_56:
	s_or_b64 exec, exec, s[34:35]
	v_or_b32_e32 v18, 0x1000, v0
	v_cmp_gt_u32_e64 s[34:35], s76, v18
                                        ; implicit-def: $vgpr17
	s_and_saveexec_b64 s[36:37], s[34:35]
	s_cbranch_execz .LBB13_58
; %bb.57:
	v_lshlrev_b32_e32 v17, 2, v18
	global_load_dword v17, v17, s[72:73]
.LBB13_58:
	s_or_b64 exec, exec, s[36:37]
	v_or_b32_e32 v19, 0x1100, v0
	v_cmp_gt_u32_e64 s[36:37], s76, v19
                                        ; implicit-def: $vgpr18
	s_and_saveexec_b64 s[38:39], s[36:37]
	s_cbranch_execz .LBB13_60
; %bb.59:
	v_lshlrev_b32_e32 v18, 2, v19
	global_load_dword v18, v18, s[72:73]
.LBB13_60:
	s_or_b64 exec, exec, s[38:39]
	v_or_b32_e32 v20, 0x1200, v0
	v_cmp_gt_u32_e64 s[38:39], s76, v20
                                        ; implicit-def: $vgpr19
	s_and_saveexec_b64 s[40:41], s[38:39]
	s_cbranch_execz .LBB13_62
; %bb.61:
	v_lshlrev_b32_e32 v19, 2, v20
	global_load_dword v19, v19, s[72:73]
.LBB13_62:
	s_or_b64 exec, exec, s[40:41]
	v_or_b32_e32 v21, 0x1300, v0
	v_cmp_gt_u32_e64 s[40:41], s76, v21
                                        ; implicit-def: $vgpr20
	s_and_saveexec_b64 s[42:43], s[40:41]
	s_cbranch_execz .LBB13_64
; %bb.63:
	v_lshlrev_b32_e32 v20, 2, v21
	global_load_dword v20, v20, s[72:73]
.LBB13_64:
	s_or_b64 exec, exec, s[42:43]
	v_or_b32_e32 v22, 0x1400, v0
	v_cmp_gt_u32_e64 s[42:43], s76, v22
                                        ; implicit-def: $vgpr21
	s_and_saveexec_b64 s[44:45], s[42:43]
	s_cbranch_execz .LBB13_66
; %bb.65:
	v_lshlrev_b32_e32 v21, 2, v22
	global_load_dword v21, v21, s[72:73]
.LBB13_66:
	s_or_b64 exec, exec, s[44:45]
	v_or_b32_e32 v23, 0x1500, v0
	v_cmp_gt_u32_e64 s[44:45], s76, v23
                                        ; implicit-def: $vgpr22
	s_and_saveexec_b64 s[46:47], s[44:45]
	s_cbranch_execz .LBB13_68
; %bb.67:
	v_lshlrev_b32_e32 v22, 2, v23
	global_load_dword v22, v22, s[72:73]
.LBB13_68:
	s_or_b64 exec, exec, s[46:47]
	v_or_b32_e32 v24, 0x1600, v0
	v_cmp_gt_u32_e64 s[46:47], s76, v24
                                        ; implicit-def: $vgpr23
	s_and_saveexec_b64 s[48:49], s[46:47]
	s_cbranch_execz .LBB13_70
; %bb.69:
	v_lshlrev_b32_e32 v23, 2, v24
	global_load_dword v23, v23, s[72:73]
.LBB13_70:
	s_or_b64 exec, exec, s[48:49]
	v_or_b32_e32 v25, 0x1700, v0
	v_cmp_gt_u32_e64 s[48:49], s76, v25
                                        ; implicit-def: $vgpr24
	s_and_saveexec_b64 s[50:51], s[48:49]
	s_cbranch_execz .LBB13_72
; %bb.71:
	v_lshlrev_b32_e32 v24, 2, v25
	global_load_dword v24, v24, s[72:73]
.LBB13_72:
	s_or_b64 exec, exec, s[50:51]
	v_or_b32_e32 v26, 0x1800, v0
	v_cmp_gt_u32_e64 s[50:51], s76, v26
                                        ; implicit-def: $vgpr25
	s_and_saveexec_b64 s[52:53], s[50:51]
	s_cbranch_execz .LBB13_74
; %bb.73:
	v_lshlrev_b32_e32 v25, 2, v26
	global_load_dword v25, v25, s[72:73]
.LBB13_74:
	s_or_b64 exec, exec, s[52:53]
	v_or_b32_e32 v27, 0x1900, v0
	v_cmp_gt_u32_e64 s[52:53], s76, v27
                                        ; implicit-def: $vgpr26
	s_and_saveexec_b64 s[54:55], s[52:53]
	s_cbranch_execz .LBB13_76
; %bb.75:
	v_lshlrev_b32_e32 v26, 2, v27
	global_load_dword v26, v26, s[72:73]
.LBB13_76:
	s_or_b64 exec, exec, s[54:55]
	v_or_b32_e32 v28, 0x1a00, v0
	v_cmp_gt_u32_e64 s[54:55], s76, v28
                                        ; implicit-def: $vgpr27
	s_and_saveexec_b64 s[56:57], s[54:55]
	s_cbranch_execz .LBB13_78
; %bb.77:
	v_lshlrev_b32_e32 v27, 2, v28
	global_load_dword v27, v27, s[72:73]
.LBB13_78:
	s_or_b64 exec, exec, s[56:57]
	v_or_b32_e32 v29, 0x1b00, v0
	v_cmp_gt_u32_e64 s[56:57], s76, v29
                                        ; implicit-def: $vgpr28
	s_and_saveexec_b64 s[58:59], s[56:57]
	s_cbranch_execz .LBB13_80
; %bb.79:
	v_lshlrev_b32_e32 v28, 2, v29
	global_load_dword v28, v28, s[72:73]
.LBB13_80:
	s_or_b64 exec, exec, s[58:59]
	v_or_b32_e32 v30, 0x1c00, v0
	v_cmp_gt_u32_e64 s[58:59], s76, v30
                                        ; implicit-def: $vgpr29
	s_and_saveexec_b64 s[60:61], s[58:59]
	s_cbranch_execz .LBB13_82
; %bb.81:
	v_lshlrev_b32_e32 v29, 2, v30
	global_load_dword v29, v29, s[72:73]
.LBB13_82:
	s_or_b64 exec, exec, s[60:61]
	v_or_b32_e32 v31, 0x1d00, v0
	v_cmp_gt_u32_e64 s[60:61], s76, v31
                                        ; implicit-def: $vgpr30
	s_and_saveexec_b64 s[62:63], s[60:61]
	s_cbranch_execz .LBB13_84
; %bb.83:
	v_lshlrev_b32_e32 v30, 2, v31
	global_load_dword v30, v30, s[72:73]
.LBB13_84:
	s_or_b64 exec, exec, s[62:63]
	v_or_b32_e32 v32, 0x1e00, v0
	v_cmp_gt_u32_e64 s[62:63], s76, v32
                                        ; implicit-def: $vgpr31
	s_and_saveexec_b64 s[64:65], s[62:63]
	s_cbranch_execz .LBB13_86
; %bb.85:
	v_lshlrev_b32_e32 v31, 2, v32
	global_load_dword v31, v31, s[72:73]
.LBB13_86:
	s_or_b64 exec, exec, s[64:65]
	v_or_b32_e32 v33, 0x1f00, v0
	v_cmp_gt_u32_e64 s[64:65], s76, v33
                                        ; implicit-def: $vgpr32
	s_and_saveexec_b64 s[74:75], s[64:65]
	s_cbranch_execz .LBB13_88
; %bb.87:
	v_lshlrev_b32_e32 v32, 2, v33
	global_load_dword v32, v32, s[72:73]
.LBB13_88:
	s_or_b64 exec, exec, s[74:75]
	s_waitcnt vmcnt(0)
	v_add_f32_e32 v2, v1, v2
	v_cndmask_b32_e32 v1, v1, v2, vcc
	v_add_f32_e32 v2, v1, v3
	v_cndmask_b32_e64 v1, v1, v2, s[0:1]
	v_add_f32_e32 v2, v1, v4
	v_cndmask_b32_e64 v1, v1, v2, s[2:3]
	;; [unrolled: 2-line block ×30, first 2 shown]
	v_mbcnt_lo_u32_b32 v2, -1, 0
	v_mbcnt_hi_u32_b32 v2, -1, v2
	v_and_b32_e32 v4, 63, v2
	v_cmp_ne_u32_e32 vcc, 63, v4
	v_addc_co_u32_e32 v3, vcc, 0, v2, vcc
	v_lshlrev_b32_e32 v3, 2, v3
	ds_bpermute_b32 v3, v3, v1
	s_min_u32 s8, s76, 0x100
	v_and_b32_e32 v5, 0xc0, v0
	v_sub_u32_e64 v5, s8, v5 clamp
	v_add_u32_e32 v6, 1, v4
	v_cmp_gt_u32_e64 s[0:1], 62, v4
	s_waitcnt lgkmcnt(0)
	v_add_f32_e32 v3, v1, v3
	v_cmp_lt_u32_e32 vcc, v6, v5
	v_cndmask_b32_e64 v6, 0, 2, s[0:1]
	v_cndmask_b32_e32 v3, v1, v3, vcc
	v_add_lshl_u32 v6, v6, v2, 2
	ds_bpermute_b32 v6, v6, v3
	v_add_u32_e32 v7, 2, v4
	v_cmp_lt_u32_e64 s[0:1], v7, v5
	v_add_u32_e32 v7, 4, v4
	s_waitcnt lgkmcnt(0)
	v_add_f32_e32 v6, v3, v6
	v_cndmask_b32_e64 v3, v3, v6, s[0:1]
	v_cmp_gt_u32_e64 s[0:1], 60, v4
	v_cndmask_b32_e64 v6, 0, 4, s[0:1]
	v_add_lshl_u32 v6, v6, v2, 2
	ds_bpermute_b32 v6, v6, v3
	v_cmp_lt_u32_e64 s[0:1], v7, v5
	v_add_u32_e32 v7, 8, v4
	s_waitcnt lgkmcnt(0)
	v_add_f32_e32 v6, v3, v6
	v_cndmask_b32_e64 v3, v3, v6, s[0:1]
	v_cmp_gt_u32_e64 s[0:1], 56, v4
	v_cndmask_b32_e64 v6, 0, 8, s[0:1]
	v_add_lshl_u32 v6, v6, v2, 2
	ds_bpermute_b32 v6, v6, v3
	;; [unrolled: 9-line block ×3, first 2 shown]
	v_cmp_lt_u32_e64 s[0:1], v7, v5
	v_add_u32_e32 v4, 32, v4
	s_waitcnt lgkmcnt(0)
	v_add_f32_e32 v6, v3, v6
	v_cndmask_b32_e64 v6, v3, v6, s[0:1]
	v_lshlrev_b32_e32 v3, 2, v2
	v_or_b32_e32 v7, 0x80, v3
	ds_bpermute_b32 v7, v7, v6
	v_cmp_lt_u32_e64 s[0:1], v4, v5
	s_waitcnt lgkmcnt(0)
	v_add_f32_e32 v7, v6, v7
	v_cndmask_b32_e64 v4, v6, v7, s[0:1]
	v_cndmask_b32_e32 v1, v1, v4, vcc
	v_cmp_eq_u32_e32 vcc, 0, v2
	s_and_saveexec_b64 s[0:1], vcc
; %bb.89:
	v_lshrrev_b32_e32 v4, 4, v0
	v_and_b32_e32 v4, 12, v4
	ds_write_b32 v4, v1 offset:96
; %bb.90:
	s_or_b64 exec, exec, s[0:1]
	v_cmp_gt_u32_e32 vcc, 4, v0
	s_waitcnt lgkmcnt(0)
	s_barrier
	s_and_saveexec_b64 s[2:3], vcc
	s_cbranch_execz .LBB13_92
; %bb.91:
	ds_read_b32 v1, v3 offset:96
	v_and_b32_e32 v4, 3, v2
	v_cmp_ne_u32_e32 vcc, 3, v4
	v_addc_co_u32_e32 v2, vcc, 0, v2, vcc
	v_lshlrev_b32_e32 v2, 2, v2
	s_waitcnt lgkmcnt(0)
	ds_bpermute_b32 v2, v2, v1
	s_add_i32 s8, s8, 63
	s_lshr_b32 s0, s8, 6
	v_add_u32_e32 v5, 1, v4
	v_cmp_gt_u32_e32 vcc, s0, v5
	s_waitcnt lgkmcnt(0)
	v_add_f32_e32 v2, v1, v2
	v_cndmask_b32_e32 v2, v1, v2, vcc
	v_or_b32_e32 v3, 8, v3
	ds_bpermute_b32 v3, v3, v2
	v_add_u32_e32 v4, 2, v4
	v_cmp_gt_u32_e64 s[0:1], s0, v4
	s_waitcnt lgkmcnt(0)
	v_add_f32_e32 v3, v2, v3
	v_cndmask_b32_e64 v2, v2, v3, s[0:1]
	v_cndmask_b32_e32 v1, v1, v2, vcc
.LBB13_92:
	s_or_b64 exec, exec, s[2:3]
	v_cmp_eq_u32_e64 s[0:1], 0, v0
	s_and_b64 vcc, exec, s[66:67]
	s_cbranch_vccnz .LBB13_15
.LBB13_93:
	s_branch .LBB13_142
.LBB13_94:
	s_mov_b64 s[2:3], -1
                                        ; implicit-def: $vgpr1
.LBB13_95:
	s_and_b64 vcc, exec, s[2:3]
	s_cbranch_vccz .LBB13_133
; %bb.96:
	s_sub_i32 s38, s70, s0
	v_mov_b32_e32 v1, 0
	v_cmp_gt_u32_e32 vcc, s38, v0
	v_mov_b32_e32 v2, v1
	v_mov_b32_e32 v3, v1
	;; [unrolled: 1-line block ×15, first 2 shown]
	s_and_saveexec_b64 s[0:1], vcc
	s_cbranch_execz .LBB13_98
; %bb.97:
	v_mov_b32_e32 v2, v1
	v_mov_b32_e32 v3, v1
	;; [unrolled: 1-line block ×15, first 2 shown]
	v_lshlrev_b32_e32 v1, 2, v0
	global_load_dword v1, v1, s[34:35]
.LBB13_98:
	s_or_b64 exec, exec, s[0:1]
	v_or_b32_e32 v17, 0x100, v0
	v_cmp_gt_u32_e32 vcc, s38, v17
	s_and_saveexec_b64 s[0:1], vcc
	s_cbranch_execz .LBB13_100
; %bb.99:
	v_lshlrev_b32_e32 v2, 2, v0
	global_load_dword v2, v2, s[34:35] offset:1024
.LBB13_100:
	s_or_b64 exec, exec, s[0:1]
	v_or_b32_e32 v17, 0x200, v0
	v_cmp_gt_u32_e64 s[0:1], s38, v17
	s_and_saveexec_b64 s[2:3], s[0:1]
	s_cbranch_execz .LBB13_102
; %bb.101:
	v_lshlrev_b32_e32 v3, 2, v0
	global_load_dword v3, v3, s[34:35] offset:2048
.LBB13_102:
	s_or_b64 exec, exec, s[2:3]
	v_or_b32_e32 v17, 0x300, v0
	v_cmp_gt_u32_e64 s[2:3], s38, v17
	s_and_saveexec_b64 s[8:9], s[2:3]
	;; [unrolled: 9-line block ×3, first 2 shown]
	s_cbranch_execz .LBB13_106
; %bb.105:
	v_lshlrev_b32_e32 v5, 2, v17
	global_load_dword v5, v5, s[34:35]
.LBB13_106:
	s_or_b64 exec, exec, s[10:11]
	v_or_b32_e32 v17, 0x500, v0
	v_cmp_gt_u32_e64 s[10:11], s38, v17
	s_and_saveexec_b64 s[12:13], s[10:11]
	s_cbranch_execz .LBB13_108
; %bb.107:
	v_lshlrev_b32_e32 v6, 2, v17
	global_load_dword v6, v6, s[34:35]
.LBB13_108:
	s_or_b64 exec, exec, s[12:13]
	v_or_b32_e32 v17, 0x600, v0
	v_cmp_gt_u32_e64 s[12:13], s38, v17
	s_and_saveexec_b64 s[14:15], s[12:13]
	;; [unrolled: 9-line block ×11, first 2 shown]
	s_cbranch_execz .LBB13_128
; %bb.127:
	v_lshlrev_b32_e32 v16, 2, v17
	global_load_dword v16, v16, s[34:35]
.LBB13_128:
	s_or_b64 exec, exec, s[36:37]
	s_waitcnt vmcnt(0)
	v_add_f32_e32 v2, v1, v2
	v_cndmask_b32_e32 v1, v1, v2, vcc
	v_add_f32_e32 v2, v3, v1
	v_cndmask_b32_e64 v1, v1, v2, s[0:1]
	v_add_f32_e32 v2, v4, v1
	v_cndmask_b32_e64 v1, v1, v2, s[2:3]
	;; [unrolled: 2-line block ×14, first 2 shown]
	v_mbcnt_lo_u32_b32 v2, -1, 0
	v_mbcnt_hi_u32_b32 v2, -1, v2
	v_and_b32_e32 v4, 63, v2
	v_cmp_ne_u32_e32 vcc, 63, v4
	v_addc_co_u32_e32 v3, vcc, 0, v2, vcc
	v_lshlrev_b32_e32 v3, 2, v3
	ds_bpermute_b32 v3, v3, v1
	s_min_u32 s8, s38, 0x100
	v_and_b32_e32 v5, 0xc0, v0
	v_sub_u32_e64 v5, s8, v5 clamp
	v_add_u32_e32 v6, 1, v4
	v_cmp_gt_u32_e64 s[0:1], 62, v4
	s_waitcnt lgkmcnt(0)
	v_add_f32_e32 v3, v1, v3
	v_cmp_lt_u32_e32 vcc, v6, v5
	v_cndmask_b32_e64 v6, 0, 2, s[0:1]
	v_cndmask_b32_e32 v3, v1, v3, vcc
	v_add_lshl_u32 v6, v6, v2, 2
	ds_bpermute_b32 v6, v6, v3
	v_add_u32_e32 v7, 2, v4
	v_cmp_lt_u32_e64 s[0:1], v7, v5
	v_add_u32_e32 v7, 4, v4
	s_waitcnt lgkmcnt(0)
	v_add_f32_e32 v6, v3, v6
	v_cndmask_b32_e64 v3, v3, v6, s[0:1]
	v_cmp_gt_u32_e64 s[0:1], 60, v4
	v_cndmask_b32_e64 v6, 0, 4, s[0:1]
	v_add_lshl_u32 v6, v6, v2, 2
	ds_bpermute_b32 v6, v6, v3
	v_cmp_lt_u32_e64 s[0:1], v7, v5
	v_add_u32_e32 v7, 8, v4
	s_waitcnt lgkmcnt(0)
	v_add_f32_e32 v6, v3, v6
	v_cndmask_b32_e64 v3, v3, v6, s[0:1]
	v_cmp_gt_u32_e64 s[0:1], 56, v4
	v_cndmask_b32_e64 v6, 0, 8, s[0:1]
	v_add_lshl_u32 v6, v6, v2, 2
	ds_bpermute_b32 v6, v6, v3
	v_cmp_lt_u32_e64 s[0:1], v7, v5
	v_add_u32_e32 v7, 16, v4
	s_waitcnt lgkmcnt(0)
	v_add_f32_e32 v6, v3, v6
	v_cndmask_b32_e64 v3, v3, v6, s[0:1]
	v_cmp_gt_u32_e64 s[0:1], 48, v4
	v_cndmask_b32_e64 v6, 0, 16, s[0:1]
	v_add_lshl_u32 v6, v6, v2, 2
	ds_bpermute_b32 v6, v6, v3
	v_cmp_lt_u32_e64 s[0:1], v7, v5
	v_add_u32_e32 v4, 32, v4
	s_waitcnt lgkmcnt(0)
	v_add_f32_e32 v6, v3, v6
	v_cndmask_b32_e64 v6, v3, v6, s[0:1]
	v_lshlrev_b32_e32 v3, 2, v2
	v_or_b32_e32 v7, 0x80, v3
	ds_bpermute_b32 v7, v7, v6
	v_cmp_lt_u32_e64 s[0:1], v4, v5
	s_waitcnt lgkmcnt(0)
	v_add_f32_e32 v7, v6, v7
	v_cndmask_b32_e64 v4, v6, v7, s[0:1]
	v_cndmask_b32_e32 v1, v1, v4, vcc
	v_cmp_eq_u32_e32 vcc, 0, v2
	s_and_saveexec_b64 s[0:1], vcc
; %bb.129:
	v_lshrrev_b32_e32 v4, 4, v0
	v_and_b32_e32 v4, 12, v4
	ds_write_b32 v4, v1 offset:96
; %bb.130:
	s_or_b64 exec, exec, s[0:1]
	v_cmp_gt_u32_e32 vcc, 4, v0
	s_waitcnt lgkmcnt(0)
	s_barrier
	s_and_saveexec_b64 s[2:3], vcc
	s_cbranch_execz .LBB13_132
; %bb.131:
	ds_read_b32 v1, v3 offset:96
	v_and_b32_e32 v4, 3, v2
	v_cmp_ne_u32_e32 vcc, 3, v4
	v_addc_co_u32_e32 v2, vcc, 0, v2, vcc
	v_lshlrev_b32_e32 v2, 2, v2
	s_waitcnt lgkmcnt(0)
	ds_bpermute_b32 v2, v2, v1
	s_add_i32 s8, s8, 63
	s_lshr_b32 s0, s8, 6
	v_add_u32_e32 v5, 1, v4
	v_cmp_gt_u32_e32 vcc, s0, v5
	s_waitcnt lgkmcnt(0)
	v_add_f32_e32 v2, v1, v2
	v_cndmask_b32_e32 v2, v1, v2, vcc
	v_or_b32_e32 v3, 8, v3
	ds_bpermute_b32 v3, v3, v2
	v_add_u32_e32 v4, 2, v4
	v_cmp_gt_u32_e64 s[0:1], s0, v4
	s_waitcnt lgkmcnt(0)
	v_add_f32_e32 v3, v2, v3
	v_cndmask_b32_e64 v2, v2, v3, s[0:1]
	v_cndmask_b32_e32 v1, v1, v2, vcc
.LBB13_132:
	s_or_b64 exec, exec, s[2:3]
.LBB13_133:
	v_cmp_eq_u32_e64 s[0:1], 0, v0
	s_branch .LBB13_142
.LBB13_134:
	s_cmp_eq_u32 s33, 8
	s_cbranch_scc0 .LBB13_141
; %bb.135:
	s_mov_b32 s7, 0
	s_lshl_b32 s0, s6, 11
	s_mov_b32 s1, s7
	s_lshr_b64 s[2:3], s[70:71], 11
	s_lshl_b64 s[8:9], s[0:1], 2
	s_add_u32 s16, s68, s8
	s_addc_u32 s17, s69, s9
	s_cmp_lg_u64 s[2:3], s[6:7]
	s_cbranch_scc0 .LBB13_143
; %bb.136:
	v_lshlrev_b32_e32 v3, 2, v0
	v_mov_b32_e32 v1, s17
	v_add_co_u32_e32 v2, vcc, s16, v3
	v_addc_co_u32_e32 v4, vcc, 0, v1, vcc
	v_add_co_u32_e32 v1, vcc, 0x1000, v2
	v_addc_co_u32_e32 v2, vcc, 0, v4, vcc
	global_load_dword v4, v3, s[16:17]
	global_load_dword v5, v3, s[16:17] offset:1024
	global_load_dword v6, v3, s[16:17] offset:2048
	;; [unrolled: 1-line block ×3, first 2 shown]
	global_load_dword v8, v[1:2], off
	global_load_dword v9, v[1:2], off offset:1024
	global_load_dword v10, v[1:2], off offset:2048
	;; [unrolled: 1-line block ×3, first 2 shown]
	v_mbcnt_lo_u32_b32 v1, -1, 0
	v_mbcnt_hi_u32_b32 v2, -1, v1
	v_lshlrev_b32_e32 v3, 2, v2
	v_cmp_eq_u32_e32 vcc, 0, v2
	s_waitcnt vmcnt(6)
	v_add_f32_e32 v1, v4, v5
	s_waitcnt vmcnt(5)
	v_add_f32_e32 v1, v1, v6
	s_waitcnt vmcnt(4)
	v_add_f32_e32 v1, v1, v7
	s_waitcnt vmcnt(3)
	v_add_f32_e32 v1, v1, v8
	s_waitcnt vmcnt(2)
	v_add_f32_e32 v1, v1, v9
	s_waitcnt vmcnt(1)
	v_add_f32_e32 v1, v1, v10
	s_waitcnt vmcnt(0)
	v_add_f32_e32 v1, v1, v11
	v_or_b32_e32 v4, 0xfc, v3
	s_nop 0
	v_add_f32_dpp v1, v1, v1 quad_perm:[1,0,3,2] row_mask:0xf bank_mask:0xf bound_ctrl:1
	s_nop 1
	v_add_f32_dpp v1, v1, v1 quad_perm:[2,3,0,1] row_mask:0xf bank_mask:0xf bound_ctrl:1
	s_nop 1
	v_add_f32_dpp v1, v1, v1 row_ror:4 row_mask:0xf bank_mask:0xf bound_ctrl:1
	s_nop 1
	v_add_f32_dpp v1, v1, v1 row_ror:8 row_mask:0xf bank_mask:0xf bound_ctrl:1
	s_nop 1
	v_add_f32_dpp v1, v1, v1 row_bcast:15 row_mask:0xf bank_mask:0xf bound_ctrl:1
	s_nop 1
	v_add_f32_dpp v1, v1, v1 row_bcast:31 row_mask:0xf bank_mask:0xf bound_ctrl:1
	ds_bpermute_b32 v1, v4, v1
	s_and_saveexec_b64 s[2:3], vcc
	s_cbranch_execz .LBB13_138
; %bb.137:
	v_lshrrev_b32_e32 v4, 4, v0
	v_and_b32_e32 v4, 12, v4
	s_waitcnt lgkmcnt(0)
	ds_write_b32 v4, v1 offset:80
.LBB13_138:
	s_or_b64 exec, exec, s[2:3]
	v_cmp_gt_u32_e32 vcc, 64, v0
	s_waitcnt lgkmcnt(0)
	s_barrier
	s_and_saveexec_b64 s[2:3], vcc
	s_cbranch_execz .LBB13_140
; %bb.139:
	v_and_b32_e32 v1, 3, v2
	v_lshlrev_b32_e32 v4, 2, v1
	ds_read_b32 v4, v4 offset:80
	v_cmp_ne_u32_e32 vcc, 3, v1
	v_addc_co_u32_e32 v1, vcc, 0, v2, vcc
	v_lshlrev_b32_e32 v1, 2, v1
	s_waitcnt lgkmcnt(0)
	ds_bpermute_b32 v1, v1, v4
	v_or_b32_e32 v2, 8, v3
	s_waitcnt lgkmcnt(0)
	v_add_f32_e32 v1, v4, v1
	ds_bpermute_b32 v2, v2, v1
	s_waitcnt lgkmcnt(0)
	v_add_f32_e32 v1, v1, v2
.LBB13_140:
	s_or_b64 exec, exec, s[2:3]
	s_branch .LBB13_165
.LBB13_141:
                                        ; implicit-def: $vgpr1
.LBB13_142:
	s_branch .LBB13_224
.LBB13_143:
                                        ; implicit-def: $vgpr1
	s_cbranch_execz .LBB13_165
; %bb.144:
	s_sub_i32 s20, s70, s0
	v_mov_b32_e32 v1, 0
	v_cmp_gt_u32_e32 vcc, s20, v0
	v_mov_b32_e32 v2, v1
	v_mov_b32_e32 v3, v1
	;; [unrolled: 1-line block ×7, first 2 shown]
	s_and_saveexec_b64 s[0:1], vcc
	s_cbranch_execz .LBB13_146
; %bb.145:
	v_lshlrev_b32_e32 v2, 2, v0
	global_load_dword v2, v2, s[16:17]
	v_mov_b32_e32 v3, v1
	v_mov_b32_e32 v4, v1
	;; [unrolled: 1-line block ×7, first 2 shown]
	s_waitcnt vmcnt(0)
	v_mov_b32_e32 v1, v2
	v_mov_b32_e32 v2, v3
	;; [unrolled: 1-line block ×8, first 2 shown]
.LBB13_146:
	s_or_b64 exec, exec, s[0:1]
	v_or_b32_e32 v9, 0x100, v0
	v_cmp_gt_u32_e32 vcc, s20, v9
	s_and_saveexec_b64 s[0:1], vcc
	s_cbranch_execz .LBB13_148
; %bb.147:
	v_lshlrev_b32_e32 v2, 2, v0
	global_load_dword v2, v2, s[16:17] offset:1024
.LBB13_148:
	s_or_b64 exec, exec, s[0:1]
	v_or_b32_e32 v9, 0x200, v0
	v_cmp_gt_u32_e64 s[0:1], s20, v9
	s_and_saveexec_b64 s[2:3], s[0:1]
	s_cbranch_execz .LBB13_150
; %bb.149:
	v_lshlrev_b32_e32 v3, 2, v0
	global_load_dword v3, v3, s[16:17] offset:2048
.LBB13_150:
	s_or_b64 exec, exec, s[2:3]
	v_or_b32_e32 v9, 0x300, v0
	v_cmp_gt_u32_e64 s[2:3], s20, v9
	s_and_saveexec_b64 s[8:9], s[2:3]
	;; [unrolled: 9-line block ×3, first 2 shown]
	s_cbranch_execz .LBB13_154
; %bb.153:
	v_lshlrev_b32_e32 v5, 2, v9
	global_load_dword v5, v5, s[16:17]
.LBB13_154:
	s_or_b64 exec, exec, s[10:11]
	v_or_b32_e32 v9, 0x500, v0
	v_cmp_gt_u32_e64 s[10:11], s20, v9
	s_and_saveexec_b64 s[12:13], s[10:11]
	s_cbranch_execz .LBB13_156
; %bb.155:
	v_lshlrev_b32_e32 v6, 2, v9
	global_load_dword v6, v6, s[16:17]
.LBB13_156:
	s_or_b64 exec, exec, s[12:13]
	v_or_b32_e32 v9, 0x600, v0
	v_cmp_gt_u32_e64 s[12:13], s20, v9
	s_and_saveexec_b64 s[14:15], s[12:13]
	s_cbranch_execz .LBB13_158
; %bb.157:
	v_lshlrev_b32_e32 v7, 2, v9
	global_load_dword v7, v7, s[16:17]
.LBB13_158:
	s_or_b64 exec, exec, s[14:15]
	v_or_b32_e32 v9, 0x700, v0
	v_cmp_gt_u32_e64 s[14:15], s20, v9
	s_and_saveexec_b64 s[18:19], s[14:15]
	s_cbranch_execz .LBB13_160
; %bb.159:
	v_lshlrev_b32_e32 v8, 2, v9
	global_load_dword v8, v8, s[16:17]
.LBB13_160:
	s_or_b64 exec, exec, s[18:19]
	s_waitcnt vmcnt(0)
	v_add_f32_e32 v2, v1, v2
	v_cndmask_b32_e32 v1, v1, v2, vcc
	v_add_f32_e32 v2, v3, v1
	v_cndmask_b32_e64 v1, v1, v2, s[0:1]
	v_add_f32_e32 v2, v4, v1
	v_cndmask_b32_e64 v1, v1, v2, s[2:3]
	;; [unrolled: 2-line block ×6, first 2 shown]
	v_mbcnt_lo_u32_b32 v2, -1, 0
	v_mbcnt_hi_u32_b32 v2, -1, v2
	v_and_b32_e32 v4, 63, v2
	v_cmp_ne_u32_e32 vcc, 63, v4
	v_addc_co_u32_e32 v3, vcc, 0, v2, vcc
	v_lshlrev_b32_e32 v3, 2, v3
	ds_bpermute_b32 v3, v3, v1
	s_min_u32 s8, s20, 0x100
	v_and_b32_e32 v5, 0xc0, v0
	v_sub_u32_e64 v5, s8, v5 clamp
	v_add_u32_e32 v6, 1, v4
	v_cmp_gt_u32_e64 s[0:1], 62, v4
	s_waitcnt lgkmcnt(0)
	v_add_f32_e32 v3, v1, v3
	v_cmp_lt_u32_e32 vcc, v6, v5
	v_cndmask_b32_e64 v6, 0, 2, s[0:1]
	v_cndmask_b32_e32 v3, v1, v3, vcc
	v_add_lshl_u32 v6, v6, v2, 2
	ds_bpermute_b32 v6, v6, v3
	v_add_u32_e32 v7, 2, v4
	v_cmp_lt_u32_e64 s[0:1], v7, v5
	v_add_u32_e32 v7, 4, v4
	s_waitcnt lgkmcnt(0)
	v_add_f32_e32 v6, v3, v6
	v_cndmask_b32_e64 v3, v3, v6, s[0:1]
	v_cmp_gt_u32_e64 s[0:1], 60, v4
	v_cndmask_b32_e64 v6, 0, 4, s[0:1]
	v_add_lshl_u32 v6, v6, v2, 2
	ds_bpermute_b32 v6, v6, v3
	v_cmp_lt_u32_e64 s[0:1], v7, v5
	v_add_u32_e32 v7, 8, v4
	s_waitcnt lgkmcnt(0)
	v_add_f32_e32 v6, v3, v6
	v_cndmask_b32_e64 v3, v3, v6, s[0:1]
	v_cmp_gt_u32_e64 s[0:1], 56, v4
	v_cndmask_b32_e64 v6, 0, 8, s[0:1]
	v_add_lshl_u32 v6, v6, v2, 2
	ds_bpermute_b32 v6, v6, v3
	;; [unrolled: 9-line block ×3, first 2 shown]
	v_cmp_lt_u32_e64 s[0:1], v7, v5
	v_add_u32_e32 v4, 32, v4
	s_waitcnt lgkmcnt(0)
	v_add_f32_e32 v6, v3, v6
	v_cndmask_b32_e64 v6, v3, v6, s[0:1]
	v_lshlrev_b32_e32 v3, 2, v2
	v_or_b32_e32 v7, 0x80, v3
	ds_bpermute_b32 v7, v7, v6
	v_cmp_lt_u32_e64 s[0:1], v4, v5
	s_waitcnt lgkmcnt(0)
	v_add_f32_e32 v7, v6, v7
	v_cndmask_b32_e64 v4, v6, v7, s[0:1]
	v_cndmask_b32_e32 v1, v1, v4, vcc
	v_cmp_eq_u32_e32 vcc, 0, v2
	s_and_saveexec_b64 s[0:1], vcc
; %bb.161:
	v_lshrrev_b32_e32 v4, 4, v0
	v_and_b32_e32 v4, 12, v4
	ds_write_b32 v4, v1 offset:96
; %bb.162:
	s_or_b64 exec, exec, s[0:1]
	v_cmp_gt_u32_e32 vcc, 4, v0
	s_waitcnt lgkmcnt(0)
	s_barrier
	s_and_saveexec_b64 s[2:3], vcc
	s_cbranch_execz .LBB13_164
; %bb.163:
	ds_read_b32 v1, v3 offset:96
	v_and_b32_e32 v4, 3, v2
	v_cmp_ne_u32_e32 vcc, 3, v4
	v_addc_co_u32_e32 v2, vcc, 0, v2, vcc
	v_lshlrev_b32_e32 v2, 2, v2
	s_waitcnt lgkmcnt(0)
	ds_bpermute_b32 v2, v2, v1
	s_add_i32 s8, s8, 63
	s_lshr_b32 s0, s8, 6
	v_add_u32_e32 v5, 1, v4
	v_cmp_gt_u32_e32 vcc, s0, v5
	s_waitcnt lgkmcnt(0)
	v_add_f32_e32 v2, v1, v2
	v_cndmask_b32_e32 v2, v1, v2, vcc
	v_or_b32_e32 v3, 8, v3
	ds_bpermute_b32 v3, v3, v2
	v_add_u32_e32 v4, 2, v4
	v_cmp_gt_u32_e64 s[0:1], s0, v4
	s_waitcnt lgkmcnt(0)
	v_add_f32_e32 v3, v2, v3
	v_cndmask_b32_e64 v2, v2, v3, s[0:1]
	v_cndmask_b32_e32 v1, v1, v2, vcc
.LBB13_164:
	s_or_b64 exec, exec, s[2:3]
.LBB13_165:
	v_cmp_eq_u32_e64 s[0:1], 0, v0
	s_branch .LBB13_224
.LBB13_166:
	s_cmp_gt_i32 s33, 1
	s_cbranch_scc0 .LBB13_175
; %bb.167:
	s_cmp_gt_i32 s33, 3
	s_cbranch_scc0 .LBB13_176
; %bb.168:
	s_cmp_eq_u32 s33, 4
	s_cbranch_scc0 .LBB13_177
; %bb.169:
	s_mov_b32 s7, 0
	s_lshl_b32 s0, s6, 10
	s_mov_b32 s1, s7
	s_lshr_b64 s[2:3], s[70:71], 10
	s_lshl_b64 s[8:9], s[0:1], 2
	s_add_u32 s8, s68, s8
	s_addc_u32 s9, s69, s9
	s_cmp_lg_u64 s[2:3], s[6:7]
	s_cbranch_scc0 .LBB13_179
; %bb.170:
	v_lshlrev_b32_e32 v1, 2, v0
	global_load_dword v4, v1, s[8:9]
	global_load_dword v5, v1, s[8:9] offset:1024
	global_load_dword v6, v1, s[8:9] offset:2048
	;; [unrolled: 1-line block ×3, first 2 shown]
	v_mbcnt_lo_u32_b32 v1, -1, 0
	v_mbcnt_hi_u32_b32 v2, -1, v1
	v_lshlrev_b32_e32 v3, 2, v2
	v_cmp_eq_u32_e32 vcc, 0, v2
	s_waitcnt vmcnt(2)
	v_add_f32_e32 v1, v4, v5
	s_waitcnt vmcnt(1)
	v_add_f32_e32 v1, v1, v6
	;; [unrolled: 2-line block ×3, first 2 shown]
	v_or_b32_e32 v4, 0xfc, v3
	s_nop 0
	v_add_f32_dpp v1, v1, v1 quad_perm:[1,0,3,2] row_mask:0xf bank_mask:0xf bound_ctrl:1
	s_nop 1
	v_add_f32_dpp v1, v1, v1 quad_perm:[2,3,0,1] row_mask:0xf bank_mask:0xf bound_ctrl:1
	s_nop 1
	v_add_f32_dpp v1, v1, v1 row_ror:4 row_mask:0xf bank_mask:0xf bound_ctrl:1
	s_nop 1
	v_add_f32_dpp v1, v1, v1 row_ror:8 row_mask:0xf bank_mask:0xf bound_ctrl:1
	s_nop 1
	v_add_f32_dpp v1, v1, v1 row_bcast:15 row_mask:0xf bank_mask:0xf bound_ctrl:1
	s_nop 1
	v_add_f32_dpp v1, v1, v1 row_bcast:31 row_mask:0xf bank_mask:0xf bound_ctrl:1
	ds_bpermute_b32 v1, v4, v1
	s_and_saveexec_b64 s[2:3], vcc
	s_cbranch_execz .LBB13_172
; %bb.171:
	v_lshrrev_b32_e32 v4, 4, v0
	v_and_b32_e32 v4, 12, v4
	s_waitcnt lgkmcnt(0)
	ds_write_b32 v4, v1 offset:64
.LBB13_172:
	s_or_b64 exec, exec, s[2:3]
	v_cmp_gt_u32_e32 vcc, 64, v0
	s_waitcnt lgkmcnt(0)
	s_barrier
	s_and_saveexec_b64 s[2:3], vcc
	s_cbranch_execz .LBB13_174
; %bb.173:
	v_and_b32_e32 v1, 3, v2
	v_lshlrev_b32_e32 v4, 2, v1
	ds_read_b32 v4, v4 offset:64
	v_cmp_ne_u32_e32 vcc, 3, v1
	v_addc_co_u32_e32 v1, vcc, 0, v2, vcc
	v_lshlrev_b32_e32 v1, 2, v1
	s_waitcnt lgkmcnt(0)
	ds_bpermute_b32 v1, v1, v4
	v_or_b32_e32 v2, 8, v3
	s_waitcnt lgkmcnt(0)
	v_add_f32_e32 v1, v4, v1
	ds_bpermute_b32 v2, v2, v1
	s_waitcnt lgkmcnt(0)
	v_add_f32_e32 v1, v1, v2
.LBB13_174:
	s_or_b64 exec, exec, s[2:3]
	s_mov_b64 s[2:3], 0
	s_branch .LBB13_180
.LBB13_175:
                                        ; implicit-def: $vgpr1
	s_cbranch_execnz .LBB13_215
	s_branch .LBB13_224
.LBB13_176:
                                        ; implicit-def: $vgpr1
	s_cbranch_execz .LBB13_178
	s_branch .LBB13_195
.LBB13_177:
                                        ; implicit-def: $vgpr1
.LBB13_178:
	s_branch .LBB13_224
.LBB13_179:
	s_mov_b64 s[2:3], -1
                                        ; implicit-def: $vgpr1
.LBB13_180:
	s_and_b64 vcc, exec, s[2:3]
	s_cbranch_vccz .LBB13_194
; %bb.181:
	s_sub_i32 s12, s70, s0
	v_mov_b32_e32 v1, 0
	v_cmp_gt_u32_e32 vcc, s12, v0
	v_mov_b32_e32 v2, v1
	v_mov_b32_e32 v3, v1
	;; [unrolled: 1-line block ×3, first 2 shown]
	s_and_saveexec_b64 s[0:1], vcc
	s_cbranch_execz .LBB13_183
; %bb.182:
	v_lshlrev_b32_e32 v2, 2, v0
	global_load_dword v2, v2, s[8:9]
	v_mov_b32_e32 v3, v1
	v_mov_b32_e32 v4, v1
	;; [unrolled: 1-line block ×3, first 2 shown]
	s_waitcnt vmcnt(0)
	v_mov_b32_e32 v1, v2
	v_mov_b32_e32 v2, v3
	;; [unrolled: 1-line block ×4, first 2 shown]
.LBB13_183:
	s_or_b64 exec, exec, s[0:1]
	v_or_b32_e32 v5, 0x100, v0
	v_cmp_gt_u32_e32 vcc, s12, v5
	s_and_saveexec_b64 s[0:1], vcc
	s_cbranch_execz .LBB13_185
; %bb.184:
	v_lshlrev_b32_e32 v2, 2, v0
	global_load_dword v2, v2, s[8:9] offset:1024
.LBB13_185:
	s_or_b64 exec, exec, s[0:1]
	v_or_b32_e32 v5, 0x200, v0
	v_cmp_gt_u32_e64 s[0:1], s12, v5
	s_and_saveexec_b64 s[2:3], s[0:1]
	s_cbranch_execz .LBB13_187
; %bb.186:
	v_lshlrev_b32_e32 v3, 2, v0
	global_load_dword v3, v3, s[8:9] offset:2048
.LBB13_187:
	s_or_b64 exec, exec, s[2:3]
	v_or_b32_e32 v5, 0x300, v0
	v_cmp_gt_u32_e64 s[2:3], s12, v5
	s_and_saveexec_b64 s[10:11], s[2:3]
	s_cbranch_execz .LBB13_189
; %bb.188:
	v_lshlrev_b32_e32 v4, 2, v0
	global_load_dword v4, v4, s[8:9] offset:3072
.LBB13_189:
	s_or_b64 exec, exec, s[10:11]
	s_waitcnt vmcnt(0)
	v_add_f32_e32 v2, v1, v2
	v_cndmask_b32_e32 v1, v1, v2, vcc
	v_add_f32_e32 v2, v3, v1
	v_cndmask_b32_e64 v1, v1, v2, s[0:1]
	v_add_f32_e32 v2, v4, v1
	v_cndmask_b32_e64 v1, v1, v2, s[2:3]
	v_mbcnt_lo_u32_b32 v2, -1, 0
	v_mbcnt_hi_u32_b32 v2, -1, v2
	v_and_b32_e32 v4, 63, v2
	v_cmp_ne_u32_e32 vcc, 63, v4
	v_addc_co_u32_e32 v3, vcc, 0, v2, vcc
	v_lshlrev_b32_e32 v3, 2, v3
	ds_bpermute_b32 v3, v3, v1
	s_min_u32 s8, s12, 0x100
	v_and_b32_e32 v5, 0xc0, v0
	v_sub_u32_e64 v5, s8, v5 clamp
	v_add_u32_e32 v6, 1, v4
	v_cmp_gt_u32_e64 s[0:1], 62, v4
	s_waitcnt lgkmcnt(0)
	v_add_f32_e32 v3, v1, v3
	v_cmp_lt_u32_e32 vcc, v6, v5
	v_cndmask_b32_e64 v6, 0, 2, s[0:1]
	v_cndmask_b32_e32 v3, v1, v3, vcc
	v_add_lshl_u32 v6, v6, v2, 2
	ds_bpermute_b32 v6, v6, v3
	v_add_u32_e32 v7, 2, v4
	v_cmp_lt_u32_e64 s[0:1], v7, v5
	v_add_u32_e32 v7, 4, v4
	s_waitcnt lgkmcnt(0)
	v_add_f32_e32 v6, v3, v6
	v_cndmask_b32_e64 v3, v3, v6, s[0:1]
	v_cmp_gt_u32_e64 s[0:1], 60, v4
	v_cndmask_b32_e64 v6, 0, 4, s[0:1]
	v_add_lshl_u32 v6, v6, v2, 2
	ds_bpermute_b32 v6, v6, v3
	v_cmp_lt_u32_e64 s[0:1], v7, v5
	v_add_u32_e32 v7, 8, v4
	s_waitcnt lgkmcnt(0)
	v_add_f32_e32 v6, v3, v6
	v_cndmask_b32_e64 v3, v3, v6, s[0:1]
	v_cmp_gt_u32_e64 s[0:1], 56, v4
	v_cndmask_b32_e64 v6, 0, 8, s[0:1]
	v_add_lshl_u32 v6, v6, v2, 2
	ds_bpermute_b32 v6, v6, v3
	;; [unrolled: 9-line block ×3, first 2 shown]
	v_cmp_lt_u32_e64 s[0:1], v7, v5
	v_add_u32_e32 v4, 32, v4
	s_waitcnt lgkmcnt(0)
	v_add_f32_e32 v6, v3, v6
	v_cndmask_b32_e64 v6, v3, v6, s[0:1]
	v_lshlrev_b32_e32 v3, 2, v2
	v_or_b32_e32 v7, 0x80, v3
	ds_bpermute_b32 v7, v7, v6
	v_cmp_lt_u32_e64 s[0:1], v4, v5
	s_waitcnt lgkmcnt(0)
	v_add_f32_e32 v7, v6, v7
	v_cndmask_b32_e64 v4, v6, v7, s[0:1]
	v_cndmask_b32_e32 v1, v1, v4, vcc
	v_cmp_eq_u32_e32 vcc, 0, v2
	s_and_saveexec_b64 s[0:1], vcc
; %bb.190:
	v_lshrrev_b32_e32 v4, 4, v0
	v_and_b32_e32 v4, 12, v4
	ds_write_b32 v4, v1 offset:96
; %bb.191:
	s_or_b64 exec, exec, s[0:1]
	v_cmp_gt_u32_e32 vcc, 4, v0
	s_waitcnt lgkmcnt(0)
	s_barrier
	s_and_saveexec_b64 s[2:3], vcc
	s_cbranch_execz .LBB13_193
; %bb.192:
	ds_read_b32 v1, v3 offset:96
	v_and_b32_e32 v4, 3, v2
	v_cmp_ne_u32_e32 vcc, 3, v4
	v_addc_co_u32_e32 v2, vcc, 0, v2, vcc
	v_lshlrev_b32_e32 v2, 2, v2
	s_waitcnt lgkmcnt(0)
	ds_bpermute_b32 v2, v2, v1
	s_add_i32 s8, s8, 63
	s_lshr_b32 s0, s8, 6
	v_add_u32_e32 v5, 1, v4
	v_cmp_gt_u32_e32 vcc, s0, v5
	s_waitcnt lgkmcnt(0)
	v_add_f32_e32 v2, v1, v2
	v_cndmask_b32_e32 v2, v1, v2, vcc
	v_or_b32_e32 v3, 8, v3
	ds_bpermute_b32 v3, v3, v2
	v_add_u32_e32 v4, 2, v4
	v_cmp_gt_u32_e64 s[0:1], s0, v4
	s_waitcnt lgkmcnt(0)
	v_add_f32_e32 v3, v2, v3
	v_cndmask_b32_e64 v2, v2, v3, s[0:1]
	v_cndmask_b32_e32 v1, v1, v2, vcc
.LBB13_193:
	s_or_b64 exec, exec, s[2:3]
.LBB13_194:
	v_cmp_eq_u32_e64 s[0:1], 0, v0
	s_branch .LBB13_178
.LBB13_195:
	s_cmp_eq_u32 s33, 2
	s_cbranch_scc0 .LBB13_202
; %bb.196:
	s_mov_b32 s7, 0
	s_lshl_b32 s2, s6, 9
	s_mov_b32 s3, s7
	s_lshr_b64 s[8:9], s[70:71], 9
	s_lshl_b64 s[0:1], s[2:3], 2
	s_add_u32 s0, s68, s0
	s_addc_u32 s1, s69, s1
	s_cmp_lg_u64 s[8:9], s[6:7]
	s_cbranch_scc0 .LBB13_203
; %bb.197:
	v_lshlrev_b32_e32 v1, 2, v0
	global_load_dword v4, v1, s[0:1]
	global_load_dword v5, v1, s[0:1] offset:1024
	v_mbcnt_lo_u32_b32 v1, -1, 0
	v_mbcnt_hi_u32_b32 v2, -1, v1
	v_lshlrev_b32_e32 v3, 2, v2
	v_cmp_eq_u32_e32 vcc, 0, v2
	s_waitcnt vmcnt(0)
	v_add_f32_e32 v1, v4, v5
	s_nop 1
	v_add_f32_dpp v1, v1, v1 quad_perm:[1,0,3,2] row_mask:0xf bank_mask:0xf bound_ctrl:1
	v_or_b32_e32 v4, 0xfc, v3
	s_nop 0
	v_add_f32_dpp v1, v1, v1 quad_perm:[2,3,0,1] row_mask:0xf bank_mask:0xf bound_ctrl:1
	s_nop 1
	v_add_f32_dpp v1, v1, v1 row_ror:4 row_mask:0xf bank_mask:0xf bound_ctrl:1
	s_nop 1
	v_add_f32_dpp v1, v1, v1 row_ror:8 row_mask:0xf bank_mask:0xf bound_ctrl:1
	s_nop 1
	v_add_f32_dpp v1, v1, v1 row_bcast:15 row_mask:0xf bank_mask:0xf bound_ctrl:1
	s_nop 1
	v_add_f32_dpp v1, v1, v1 row_bcast:31 row_mask:0xf bank_mask:0xf bound_ctrl:1
	ds_bpermute_b32 v1, v4, v1
	s_and_saveexec_b64 s[8:9], vcc
	s_cbranch_execz .LBB13_199
; %bb.198:
	v_lshrrev_b32_e32 v4, 4, v0
	v_and_b32_e32 v4, 12, v4
	s_waitcnt lgkmcnt(0)
	ds_write_b32 v4, v1 offset:32
.LBB13_199:
	s_or_b64 exec, exec, s[8:9]
	v_cmp_gt_u32_e32 vcc, 64, v0
	s_waitcnt lgkmcnt(0)
	s_barrier
	s_and_saveexec_b64 s[8:9], vcc
	s_cbranch_execz .LBB13_201
; %bb.200:
	v_and_b32_e32 v1, 3, v2
	v_lshlrev_b32_e32 v4, 2, v1
	ds_read_b32 v4, v4 offset:32
	v_cmp_ne_u32_e32 vcc, 3, v1
	v_addc_co_u32_e32 v1, vcc, 0, v2, vcc
	v_lshlrev_b32_e32 v1, 2, v1
	s_waitcnt lgkmcnt(0)
	ds_bpermute_b32 v1, v1, v4
	v_or_b32_e32 v2, 8, v3
	s_waitcnt lgkmcnt(0)
	v_add_f32_e32 v1, v4, v1
	ds_bpermute_b32 v2, v2, v1
	s_waitcnt lgkmcnt(0)
	v_add_f32_e32 v1, v1, v2
.LBB13_201:
	s_or_b64 exec, exec, s[8:9]
	s_mov_b64 s[8:9], 0
	s_branch .LBB13_204
.LBB13_202:
                                        ; implicit-def: $vgpr1
	s_branch .LBB13_224
.LBB13_203:
	s_mov_b64 s[8:9], -1
                                        ; implicit-def: $vgpr1
.LBB13_204:
	s_and_b64 vcc, exec, s[8:9]
	s_cbranch_vccz .LBB13_214
; %bb.205:
	s_sub_i32 s8, s70, s2
	v_mov_b32_e32 v1, 0
	v_cmp_gt_u32_e32 vcc, s8, v0
	v_mov_b32_e32 v2, v1
	s_and_saveexec_b64 s[2:3], vcc
	s_cbranch_execz .LBB13_207
; %bb.206:
	v_lshlrev_b32_e32 v2, 2, v0
	global_load_dword v2, v2, s[0:1]
	v_mov_b32_e32 v3, v1
	s_waitcnt vmcnt(0)
	v_mov_b32_e32 v1, v2
	v_mov_b32_e32 v2, v3
.LBB13_207:
	s_or_b64 exec, exec, s[2:3]
	v_or_b32_e32 v3, 0x100, v0
	v_cmp_gt_u32_e32 vcc, s8, v3
	s_and_saveexec_b64 s[2:3], vcc
	s_cbranch_execz .LBB13_209
; %bb.208:
	v_lshlrev_b32_e32 v2, 2, v0
	global_load_dword v2, v2, s[0:1] offset:1024
.LBB13_209:
	s_or_b64 exec, exec, s[2:3]
	s_waitcnt vmcnt(0)
	v_add_f32_e32 v2, v2, v1
	v_cndmask_b32_e32 v1, v1, v2, vcc
	v_mbcnt_lo_u32_b32 v2, -1, 0
	v_mbcnt_hi_u32_b32 v2, -1, v2
	v_and_b32_e32 v4, 63, v2
	v_cmp_ne_u32_e32 vcc, 63, v4
	v_addc_co_u32_e32 v3, vcc, 0, v2, vcc
	v_lshlrev_b32_e32 v3, 2, v3
	ds_bpermute_b32 v3, v3, v1
	s_min_u32 s8, s8, 0x100
	v_and_b32_e32 v5, 0xc0, v0
	v_sub_u32_e64 v5, s8, v5 clamp
	v_add_u32_e32 v6, 1, v4
	v_cmp_gt_u32_e64 s[0:1], 62, v4
	s_waitcnt lgkmcnt(0)
	v_add_f32_e32 v3, v1, v3
	v_cmp_lt_u32_e32 vcc, v6, v5
	v_cndmask_b32_e64 v6, 0, 2, s[0:1]
	v_cndmask_b32_e32 v3, v1, v3, vcc
	v_add_lshl_u32 v6, v6, v2, 2
	ds_bpermute_b32 v6, v6, v3
	v_add_u32_e32 v7, 2, v4
	v_cmp_lt_u32_e64 s[0:1], v7, v5
	v_add_u32_e32 v7, 4, v4
	s_waitcnt lgkmcnt(0)
	v_add_f32_e32 v6, v3, v6
	v_cndmask_b32_e64 v3, v3, v6, s[0:1]
	v_cmp_gt_u32_e64 s[0:1], 60, v4
	v_cndmask_b32_e64 v6, 0, 4, s[0:1]
	v_add_lshl_u32 v6, v6, v2, 2
	ds_bpermute_b32 v6, v6, v3
	v_cmp_lt_u32_e64 s[0:1], v7, v5
	v_add_u32_e32 v7, 8, v4
	s_waitcnt lgkmcnt(0)
	v_add_f32_e32 v6, v3, v6
	v_cndmask_b32_e64 v3, v3, v6, s[0:1]
	v_cmp_gt_u32_e64 s[0:1], 56, v4
	v_cndmask_b32_e64 v6, 0, 8, s[0:1]
	v_add_lshl_u32 v6, v6, v2, 2
	ds_bpermute_b32 v6, v6, v3
	;; [unrolled: 9-line block ×3, first 2 shown]
	v_cmp_lt_u32_e64 s[0:1], v7, v5
	v_add_u32_e32 v4, 32, v4
	s_waitcnt lgkmcnt(0)
	v_add_f32_e32 v6, v3, v6
	v_cndmask_b32_e64 v6, v3, v6, s[0:1]
	v_lshlrev_b32_e32 v3, 2, v2
	v_or_b32_e32 v7, 0x80, v3
	ds_bpermute_b32 v7, v7, v6
	v_cmp_lt_u32_e64 s[0:1], v4, v5
	s_waitcnt lgkmcnt(0)
	v_add_f32_e32 v7, v6, v7
	v_cndmask_b32_e64 v4, v6, v7, s[0:1]
	v_cndmask_b32_e32 v1, v1, v4, vcc
	v_cmp_eq_u32_e32 vcc, 0, v2
	s_and_saveexec_b64 s[0:1], vcc
; %bb.210:
	v_lshrrev_b32_e32 v4, 4, v0
	v_and_b32_e32 v4, 12, v4
	ds_write_b32 v4, v1 offset:96
; %bb.211:
	s_or_b64 exec, exec, s[0:1]
	v_cmp_gt_u32_e32 vcc, 4, v0
	s_waitcnt lgkmcnt(0)
	s_barrier
	s_and_saveexec_b64 s[2:3], vcc
	s_cbranch_execz .LBB13_213
; %bb.212:
	ds_read_b32 v1, v3 offset:96
	v_and_b32_e32 v4, 3, v2
	v_cmp_ne_u32_e32 vcc, 3, v4
	v_addc_co_u32_e32 v2, vcc, 0, v2, vcc
	v_lshlrev_b32_e32 v2, 2, v2
	s_waitcnt lgkmcnt(0)
	ds_bpermute_b32 v2, v2, v1
	s_add_i32 s8, s8, 63
	s_lshr_b32 s0, s8, 6
	v_add_u32_e32 v5, 1, v4
	v_cmp_gt_u32_e32 vcc, s0, v5
	s_waitcnt lgkmcnt(0)
	v_add_f32_e32 v2, v1, v2
	v_cndmask_b32_e32 v2, v1, v2, vcc
	v_or_b32_e32 v3, 8, v3
	ds_bpermute_b32 v3, v3, v2
	v_add_u32_e32 v4, 2, v4
	v_cmp_gt_u32_e64 s[0:1], s0, v4
	s_waitcnt lgkmcnt(0)
	v_add_f32_e32 v3, v2, v3
	v_cndmask_b32_e64 v2, v2, v3, s[0:1]
	v_cndmask_b32_e32 v1, v1, v2, vcc
.LBB13_213:
	s_or_b64 exec, exec, s[2:3]
.LBB13_214:
	v_cmp_eq_u32_e64 s[0:1], 0, v0
	s_branch .LBB13_224
.LBB13_215:
	s_cmp_eq_u32 s33, 1
	s_cbranch_scc0 .LBB13_223
; %bb.216:
	s_mov_b32 s1, 0
	s_lshl_b32 s0, s6, 8
	s_mov_b32 s7, s1
	s_lshr_b64 s[2:3], s[70:71], 8
	s_cmp_lg_u64 s[2:3], s[6:7]
	v_mbcnt_lo_u32_b32 v2, -1, 0
	s_cbranch_scc0 .LBB13_227
; %bb.217:
	s_lshl_b64 s[2:3], s[0:1], 2
	s_add_u32 s2, s68, s2
	s_addc_u32 s3, s69, s3
	v_lshlrev_b32_e32 v1, 2, v0
	global_load_dword v1, v1, s[2:3]
	v_mbcnt_hi_u32_b32 v3, -1, v2
	v_lshlrev_b32_e32 v4, 2, v3
	v_or_b32_e32 v5, 0xfc, v4
	v_cmp_eq_u32_e32 vcc, 0, v3
	s_waitcnt vmcnt(0)
	v_add_f32_dpp v1, v1, v1 quad_perm:[1,0,3,2] row_mask:0xf bank_mask:0xf bound_ctrl:1
	s_nop 1
	v_add_f32_dpp v1, v1, v1 quad_perm:[2,3,0,1] row_mask:0xf bank_mask:0xf bound_ctrl:1
	s_nop 1
	v_add_f32_dpp v1, v1, v1 row_ror:4 row_mask:0xf bank_mask:0xf bound_ctrl:1
	s_nop 1
	v_add_f32_dpp v1, v1, v1 row_ror:8 row_mask:0xf bank_mask:0xf bound_ctrl:1
	s_nop 1
	v_add_f32_dpp v1, v1, v1 row_bcast:15 row_mask:0xf bank_mask:0xf bound_ctrl:1
	s_nop 1
	v_add_f32_dpp v1, v1, v1 row_bcast:31 row_mask:0xf bank_mask:0xf bound_ctrl:1
	ds_bpermute_b32 v1, v5, v1
	s_and_saveexec_b64 s[2:3], vcc
	s_cbranch_execz .LBB13_219
; %bb.218:
	v_lshrrev_b32_e32 v5, 4, v0
	v_and_b32_e32 v5, 12, v5
	s_waitcnt lgkmcnt(0)
	ds_write_b32 v5, v1 offset:16
.LBB13_219:
	s_or_b64 exec, exec, s[2:3]
	v_cmp_gt_u32_e32 vcc, 64, v0
	s_waitcnt lgkmcnt(0)
	s_barrier
	s_and_saveexec_b64 s[2:3], vcc
	s_cbranch_execz .LBB13_221
; %bb.220:
	v_and_b32_e32 v1, 3, v3
	v_lshlrev_b32_e32 v5, 2, v1
	ds_read_b32 v5, v5 offset:16
	v_cmp_ne_u32_e32 vcc, 3, v1
	v_addc_co_u32_e32 v1, vcc, 0, v3, vcc
	v_lshlrev_b32_e32 v1, 2, v1
	s_waitcnt lgkmcnt(0)
	ds_bpermute_b32 v1, v1, v5
	v_or_b32_e32 v3, 8, v4
	s_waitcnt lgkmcnt(0)
	v_add_f32_e32 v1, v5, v1
	ds_bpermute_b32 v3, v3, v1
	s_waitcnt lgkmcnt(0)
	v_add_f32_e32 v1, v1, v3
.LBB13_221:
	s_or_b64 exec, exec, s[2:3]
.LBB13_222:
	v_cmp_eq_u32_e64 s[0:1], 0, v0
	s_and_saveexec_b64 s[2:3], s[0:1]
	s_cbranch_execnz .LBB13_225
	s_branch .LBB13_226
.LBB13_223:
                                        ; implicit-def: $vgpr1
                                        ; implicit-def: $sgpr6_sgpr7
.LBB13_224:
	s_and_saveexec_b64 s[2:3], s[0:1]
	s_cbranch_execz .LBB13_226
.LBB13_225:
	s_load_dwordx2 s[0:1], s[4:5], 0x18
	s_load_dword s8, s[4:5], 0x20
	s_lshl_b64 s[2:3], s[6:7], 2
	v_mov_b32_e32 v0, 0
	s_waitcnt lgkmcnt(0)
	s_add_u32 s0, s0, s2
	s_addc_u32 s1, s1, s3
	s_cmp_eq_u64 s[70:71], 0
	v_add_f32_e32 v1, s8, v1
	v_mov_b32_e32 v2, s8
	s_cselect_b64 vcc, -1, 0
	v_cndmask_b32_e32 v1, v1, v2, vcc
	global_store_dword v0, v1, s[0:1]
.LBB13_226:
	s_endpgm
.LBB13_227:
                                        ; implicit-def: $vgpr1
	s_cbranch_execz .LBB13_222
; %bb.228:
	s_sub_i32 s8, s70, s0
	v_cmp_gt_u32_e32 vcc, s8, v0
                                        ; implicit-def: $vgpr1
	s_and_saveexec_b64 s[2:3], vcc
	s_cbranch_execz .LBB13_230
; %bb.229:
	s_lshl_b64 s[0:1], s[0:1], 2
	s_add_u32 s0, s68, s0
	s_addc_u32 s1, s69, s1
	v_lshlrev_b32_e32 v1, 2, v0
	global_load_dword v1, v1, s[0:1]
.LBB13_230:
	s_or_b64 exec, exec, s[2:3]
	v_mbcnt_hi_u32_b32 v2, -1, v2
	v_and_b32_e32 v4, 63, v2
	v_cmp_ne_u32_e32 vcc, 63, v4
	v_addc_co_u32_e32 v3, vcc, 0, v2, vcc
	v_lshlrev_b32_e32 v3, 2, v3
	s_waitcnt vmcnt(0)
	ds_bpermute_b32 v3, v3, v1
	s_min_u32 s8, s8, 0x100
	v_and_b32_e32 v5, 0xc0, v0
	v_sub_u32_e64 v5, s8, v5 clamp
	v_add_u32_e32 v6, 1, v4
	v_cmp_gt_u32_e64 s[0:1], 62, v4
	s_waitcnt lgkmcnt(0)
	v_add_f32_e32 v3, v1, v3
	v_cmp_lt_u32_e32 vcc, v6, v5
	v_cndmask_b32_e64 v6, 0, 2, s[0:1]
	v_cndmask_b32_e32 v3, v1, v3, vcc
	v_add_lshl_u32 v6, v6, v2, 2
	ds_bpermute_b32 v6, v6, v3
	v_add_u32_e32 v7, 2, v4
	v_cmp_lt_u32_e64 s[0:1], v7, v5
	v_add_u32_e32 v7, 4, v4
	s_waitcnt lgkmcnt(0)
	v_add_f32_e32 v6, v3, v6
	v_cndmask_b32_e64 v3, v3, v6, s[0:1]
	v_cmp_gt_u32_e64 s[0:1], 60, v4
	v_cndmask_b32_e64 v6, 0, 4, s[0:1]
	v_add_lshl_u32 v6, v6, v2, 2
	ds_bpermute_b32 v6, v6, v3
	v_cmp_lt_u32_e64 s[0:1], v7, v5
	v_add_u32_e32 v7, 8, v4
	s_waitcnt lgkmcnt(0)
	v_add_f32_e32 v6, v3, v6
	v_cndmask_b32_e64 v3, v3, v6, s[0:1]
	v_cmp_gt_u32_e64 s[0:1], 56, v4
	v_cndmask_b32_e64 v6, 0, 8, s[0:1]
	v_add_lshl_u32 v6, v6, v2, 2
	ds_bpermute_b32 v6, v6, v3
	;; [unrolled: 9-line block ×3, first 2 shown]
	v_cmp_lt_u32_e64 s[0:1], v7, v5
	v_add_u32_e32 v4, 32, v4
	s_waitcnt lgkmcnt(0)
	v_add_f32_e32 v6, v3, v6
	v_cndmask_b32_e64 v6, v3, v6, s[0:1]
	v_lshlrev_b32_e32 v3, 2, v2
	v_or_b32_e32 v7, 0x80, v3
	ds_bpermute_b32 v7, v7, v6
	v_cmp_lt_u32_e64 s[0:1], v4, v5
	s_waitcnt lgkmcnt(0)
	v_add_f32_e32 v7, v6, v7
	v_cndmask_b32_e64 v4, v6, v7, s[0:1]
	v_cndmask_b32_e32 v1, v1, v4, vcc
	v_cmp_eq_u32_e32 vcc, 0, v2
	s_and_saveexec_b64 s[0:1], vcc
; %bb.231:
	v_lshrrev_b32_e32 v4, 4, v0
	v_and_b32_e32 v4, 12, v4
	ds_write_b32 v4, v1 offset:96
; %bb.232:
	s_or_b64 exec, exec, s[0:1]
	v_cmp_gt_u32_e32 vcc, 4, v0
	s_waitcnt lgkmcnt(0)
	s_barrier
	s_and_saveexec_b64 s[2:3], vcc
	s_cbranch_execz .LBB13_234
; %bb.233:
	ds_read_b32 v1, v3 offset:96
	v_and_b32_e32 v4, 3, v2
	v_cmp_ne_u32_e32 vcc, 3, v4
	v_addc_co_u32_e32 v2, vcc, 0, v2, vcc
	v_lshlrev_b32_e32 v2, 2, v2
	s_waitcnt lgkmcnt(0)
	ds_bpermute_b32 v2, v2, v1
	s_add_i32 s8, s8, 63
	s_lshr_b32 s0, s8, 6
	v_add_u32_e32 v5, 1, v4
	v_cmp_gt_u32_e32 vcc, s0, v5
	s_waitcnt lgkmcnt(0)
	v_add_f32_e32 v2, v1, v2
	v_cndmask_b32_e32 v2, v1, v2, vcc
	v_or_b32_e32 v3, 8, v3
	ds_bpermute_b32 v3, v3, v2
	v_add_u32_e32 v4, 2, v4
	v_cmp_gt_u32_e64 s[0:1], s0, v4
	s_waitcnt lgkmcnt(0)
	v_add_f32_e32 v3, v2, v3
	v_cndmask_b32_e64 v2, v2, v3, s[0:1]
	v_cndmask_b32_e32 v1, v1, v2, vcc
.LBB13_234:
	s_or_b64 exec, exec, s[2:3]
	v_cmp_eq_u32_e64 s[0:1], 0, v0
	s_and_saveexec_b64 s[2:3], s[0:1]
	s_cbranch_execnz .LBB13_225
	s_branch .LBB13_226
	.section	.rodata,"a",@progbits
	.p2align	6, 0x0
	.amdhsa_kernel _ZN7rocprim17ROCPRIM_400000_NS6detail17trampoline_kernelINS0_14default_configENS1_22reduce_config_selectorIfEEZNS1_11reduce_implILb1ES3_PfS7_fN6thrust23THRUST_200600_302600_NS4plusIfEEEE10hipError_tPvRmT1_T2_T3_mT4_P12ihipStream_tbEUlT_E1_NS1_11comp_targetILNS1_3genE2ELNS1_11target_archE906ELNS1_3gpuE6ELNS1_3repE0EEENS1_30default_config_static_selectorELNS0_4arch9wavefront6targetE1EEEvSF_
		.amdhsa_group_segment_fixed_size 112
		.amdhsa_private_segment_fixed_size 0
		.amdhsa_kernarg_size 40
		.amdhsa_user_sgpr_count 6
		.amdhsa_user_sgpr_private_segment_buffer 1
		.amdhsa_user_sgpr_dispatch_ptr 0
		.amdhsa_user_sgpr_queue_ptr 0
		.amdhsa_user_sgpr_kernarg_segment_ptr 1
		.amdhsa_user_sgpr_dispatch_id 0
		.amdhsa_user_sgpr_flat_scratch_init 0
		.amdhsa_user_sgpr_private_segment_size 0
		.amdhsa_uses_dynamic_stack 0
		.amdhsa_system_sgpr_private_segment_wavefront_offset 0
		.amdhsa_system_sgpr_workgroup_id_x 1
		.amdhsa_system_sgpr_workgroup_id_y 0
		.amdhsa_system_sgpr_workgroup_id_z 0
		.amdhsa_system_sgpr_workgroup_info 0
		.amdhsa_system_vgpr_workitem_id 0
		.amdhsa_next_free_vgpr 39
		.amdhsa_next_free_sgpr 77
		.amdhsa_reserve_vcc 1
		.amdhsa_reserve_flat_scratch 0
		.amdhsa_float_round_mode_32 0
		.amdhsa_float_round_mode_16_64 0
		.amdhsa_float_denorm_mode_32 3
		.amdhsa_float_denorm_mode_16_64 3
		.amdhsa_dx10_clamp 1
		.amdhsa_ieee_mode 1
		.amdhsa_fp16_overflow 0
		.amdhsa_exception_fp_ieee_invalid_op 0
		.amdhsa_exception_fp_denorm_src 0
		.amdhsa_exception_fp_ieee_div_zero 0
		.amdhsa_exception_fp_ieee_overflow 0
		.amdhsa_exception_fp_ieee_underflow 0
		.amdhsa_exception_fp_ieee_inexact 0
		.amdhsa_exception_int_div_zero 0
	.end_amdhsa_kernel
	.section	.text._ZN7rocprim17ROCPRIM_400000_NS6detail17trampoline_kernelINS0_14default_configENS1_22reduce_config_selectorIfEEZNS1_11reduce_implILb1ES3_PfS7_fN6thrust23THRUST_200600_302600_NS4plusIfEEEE10hipError_tPvRmT1_T2_T3_mT4_P12ihipStream_tbEUlT_E1_NS1_11comp_targetILNS1_3genE2ELNS1_11target_archE906ELNS1_3gpuE6ELNS1_3repE0EEENS1_30default_config_static_selectorELNS0_4arch9wavefront6targetE1EEEvSF_,"axG",@progbits,_ZN7rocprim17ROCPRIM_400000_NS6detail17trampoline_kernelINS0_14default_configENS1_22reduce_config_selectorIfEEZNS1_11reduce_implILb1ES3_PfS7_fN6thrust23THRUST_200600_302600_NS4plusIfEEEE10hipError_tPvRmT1_T2_T3_mT4_P12ihipStream_tbEUlT_E1_NS1_11comp_targetILNS1_3genE2ELNS1_11target_archE906ELNS1_3gpuE6ELNS1_3repE0EEENS1_30default_config_static_selectorELNS0_4arch9wavefront6targetE1EEEvSF_,comdat
.Lfunc_end13:
	.size	_ZN7rocprim17ROCPRIM_400000_NS6detail17trampoline_kernelINS0_14default_configENS1_22reduce_config_selectorIfEEZNS1_11reduce_implILb1ES3_PfS7_fN6thrust23THRUST_200600_302600_NS4plusIfEEEE10hipError_tPvRmT1_T2_T3_mT4_P12ihipStream_tbEUlT_E1_NS1_11comp_targetILNS1_3genE2ELNS1_11target_archE906ELNS1_3gpuE6ELNS1_3repE0EEENS1_30default_config_static_selectorELNS0_4arch9wavefront6targetE1EEEvSF_, .Lfunc_end13-_ZN7rocprim17ROCPRIM_400000_NS6detail17trampoline_kernelINS0_14default_configENS1_22reduce_config_selectorIfEEZNS1_11reduce_implILb1ES3_PfS7_fN6thrust23THRUST_200600_302600_NS4plusIfEEEE10hipError_tPvRmT1_T2_T3_mT4_P12ihipStream_tbEUlT_E1_NS1_11comp_targetILNS1_3genE2ELNS1_11target_archE906ELNS1_3gpuE6ELNS1_3repE0EEENS1_30default_config_static_selectorELNS0_4arch9wavefront6targetE1EEEvSF_
                                        ; -- End function
	.set _ZN7rocprim17ROCPRIM_400000_NS6detail17trampoline_kernelINS0_14default_configENS1_22reduce_config_selectorIfEEZNS1_11reduce_implILb1ES3_PfS7_fN6thrust23THRUST_200600_302600_NS4plusIfEEEE10hipError_tPvRmT1_T2_T3_mT4_P12ihipStream_tbEUlT_E1_NS1_11comp_targetILNS1_3genE2ELNS1_11target_archE906ELNS1_3gpuE6ELNS1_3repE0EEENS1_30default_config_static_selectorELNS0_4arch9wavefront6targetE1EEEvSF_.num_vgpr, 39
	.set _ZN7rocprim17ROCPRIM_400000_NS6detail17trampoline_kernelINS0_14default_configENS1_22reduce_config_selectorIfEEZNS1_11reduce_implILb1ES3_PfS7_fN6thrust23THRUST_200600_302600_NS4plusIfEEEE10hipError_tPvRmT1_T2_T3_mT4_P12ihipStream_tbEUlT_E1_NS1_11comp_targetILNS1_3genE2ELNS1_11target_archE906ELNS1_3gpuE6ELNS1_3repE0EEENS1_30default_config_static_selectorELNS0_4arch9wavefront6targetE1EEEvSF_.num_agpr, 0
	.set _ZN7rocprim17ROCPRIM_400000_NS6detail17trampoline_kernelINS0_14default_configENS1_22reduce_config_selectorIfEEZNS1_11reduce_implILb1ES3_PfS7_fN6thrust23THRUST_200600_302600_NS4plusIfEEEE10hipError_tPvRmT1_T2_T3_mT4_P12ihipStream_tbEUlT_E1_NS1_11comp_targetILNS1_3genE2ELNS1_11target_archE906ELNS1_3gpuE6ELNS1_3repE0EEENS1_30default_config_static_selectorELNS0_4arch9wavefront6targetE1EEEvSF_.numbered_sgpr, 77
	.set _ZN7rocprim17ROCPRIM_400000_NS6detail17trampoline_kernelINS0_14default_configENS1_22reduce_config_selectorIfEEZNS1_11reduce_implILb1ES3_PfS7_fN6thrust23THRUST_200600_302600_NS4plusIfEEEE10hipError_tPvRmT1_T2_T3_mT4_P12ihipStream_tbEUlT_E1_NS1_11comp_targetILNS1_3genE2ELNS1_11target_archE906ELNS1_3gpuE6ELNS1_3repE0EEENS1_30default_config_static_selectorELNS0_4arch9wavefront6targetE1EEEvSF_.num_named_barrier, 0
	.set _ZN7rocprim17ROCPRIM_400000_NS6detail17trampoline_kernelINS0_14default_configENS1_22reduce_config_selectorIfEEZNS1_11reduce_implILb1ES3_PfS7_fN6thrust23THRUST_200600_302600_NS4plusIfEEEE10hipError_tPvRmT1_T2_T3_mT4_P12ihipStream_tbEUlT_E1_NS1_11comp_targetILNS1_3genE2ELNS1_11target_archE906ELNS1_3gpuE6ELNS1_3repE0EEENS1_30default_config_static_selectorELNS0_4arch9wavefront6targetE1EEEvSF_.private_seg_size, 0
	.set _ZN7rocprim17ROCPRIM_400000_NS6detail17trampoline_kernelINS0_14default_configENS1_22reduce_config_selectorIfEEZNS1_11reduce_implILb1ES3_PfS7_fN6thrust23THRUST_200600_302600_NS4plusIfEEEE10hipError_tPvRmT1_T2_T3_mT4_P12ihipStream_tbEUlT_E1_NS1_11comp_targetILNS1_3genE2ELNS1_11target_archE906ELNS1_3gpuE6ELNS1_3repE0EEENS1_30default_config_static_selectorELNS0_4arch9wavefront6targetE1EEEvSF_.uses_vcc, 1
	.set _ZN7rocprim17ROCPRIM_400000_NS6detail17trampoline_kernelINS0_14default_configENS1_22reduce_config_selectorIfEEZNS1_11reduce_implILb1ES3_PfS7_fN6thrust23THRUST_200600_302600_NS4plusIfEEEE10hipError_tPvRmT1_T2_T3_mT4_P12ihipStream_tbEUlT_E1_NS1_11comp_targetILNS1_3genE2ELNS1_11target_archE906ELNS1_3gpuE6ELNS1_3repE0EEENS1_30default_config_static_selectorELNS0_4arch9wavefront6targetE1EEEvSF_.uses_flat_scratch, 0
	.set _ZN7rocprim17ROCPRIM_400000_NS6detail17trampoline_kernelINS0_14default_configENS1_22reduce_config_selectorIfEEZNS1_11reduce_implILb1ES3_PfS7_fN6thrust23THRUST_200600_302600_NS4plusIfEEEE10hipError_tPvRmT1_T2_T3_mT4_P12ihipStream_tbEUlT_E1_NS1_11comp_targetILNS1_3genE2ELNS1_11target_archE906ELNS1_3gpuE6ELNS1_3repE0EEENS1_30default_config_static_selectorELNS0_4arch9wavefront6targetE1EEEvSF_.has_dyn_sized_stack, 0
	.set _ZN7rocprim17ROCPRIM_400000_NS6detail17trampoline_kernelINS0_14default_configENS1_22reduce_config_selectorIfEEZNS1_11reduce_implILb1ES3_PfS7_fN6thrust23THRUST_200600_302600_NS4plusIfEEEE10hipError_tPvRmT1_T2_T3_mT4_P12ihipStream_tbEUlT_E1_NS1_11comp_targetILNS1_3genE2ELNS1_11target_archE906ELNS1_3gpuE6ELNS1_3repE0EEENS1_30default_config_static_selectorELNS0_4arch9wavefront6targetE1EEEvSF_.has_recursion, 0
	.set _ZN7rocprim17ROCPRIM_400000_NS6detail17trampoline_kernelINS0_14default_configENS1_22reduce_config_selectorIfEEZNS1_11reduce_implILb1ES3_PfS7_fN6thrust23THRUST_200600_302600_NS4plusIfEEEE10hipError_tPvRmT1_T2_T3_mT4_P12ihipStream_tbEUlT_E1_NS1_11comp_targetILNS1_3genE2ELNS1_11target_archE906ELNS1_3gpuE6ELNS1_3repE0EEENS1_30default_config_static_selectorELNS0_4arch9wavefront6targetE1EEEvSF_.has_indirect_call, 0
	.section	.AMDGPU.csdata,"",@progbits
; Kernel info:
; codeLenInByte = 9788
; TotalNumSgprs: 81
; NumVgprs: 39
; ScratchSize: 0
; MemoryBound: 0
; FloatMode: 240
; IeeeMode: 1
; LDSByteSize: 112 bytes/workgroup (compile time only)
; SGPRBlocks: 10
; VGPRBlocks: 9
; NumSGPRsForWavesPerEU: 81
; NumVGPRsForWavesPerEU: 39
; Occupancy: 6
; WaveLimiterHint : 1
; COMPUTE_PGM_RSRC2:SCRATCH_EN: 0
; COMPUTE_PGM_RSRC2:USER_SGPR: 6
; COMPUTE_PGM_RSRC2:TRAP_HANDLER: 0
; COMPUTE_PGM_RSRC2:TGID_X_EN: 1
; COMPUTE_PGM_RSRC2:TGID_Y_EN: 0
; COMPUTE_PGM_RSRC2:TGID_Z_EN: 0
; COMPUTE_PGM_RSRC2:TIDIG_COMP_CNT: 0
	.section	.text._ZN7rocprim17ROCPRIM_400000_NS6detail17trampoline_kernelINS0_14default_configENS1_22reduce_config_selectorIfEEZNS1_11reduce_implILb1ES3_PfS7_fN6thrust23THRUST_200600_302600_NS4plusIfEEEE10hipError_tPvRmT1_T2_T3_mT4_P12ihipStream_tbEUlT_E1_NS1_11comp_targetILNS1_3genE10ELNS1_11target_archE1201ELNS1_3gpuE5ELNS1_3repE0EEENS1_30default_config_static_selectorELNS0_4arch9wavefront6targetE1EEEvSF_,"axG",@progbits,_ZN7rocprim17ROCPRIM_400000_NS6detail17trampoline_kernelINS0_14default_configENS1_22reduce_config_selectorIfEEZNS1_11reduce_implILb1ES3_PfS7_fN6thrust23THRUST_200600_302600_NS4plusIfEEEE10hipError_tPvRmT1_T2_T3_mT4_P12ihipStream_tbEUlT_E1_NS1_11comp_targetILNS1_3genE10ELNS1_11target_archE1201ELNS1_3gpuE5ELNS1_3repE0EEENS1_30default_config_static_selectorELNS0_4arch9wavefront6targetE1EEEvSF_,comdat
	.protected	_ZN7rocprim17ROCPRIM_400000_NS6detail17trampoline_kernelINS0_14default_configENS1_22reduce_config_selectorIfEEZNS1_11reduce_implILb1ES3_PfS7_fN6thrust23THRUST_200600_302600_NS4plusIfEEEE10hipError_tPvRmT1_T2_T3_mT4_P12ihipStream_tbEUlT_E1_NS1_11comp_targetILNS1_3genE10ELNS1_11target_archE1201ELNS1_3gpuE5ELNS1_3repE0EEENS1_30default_config_static_selectorELNS0_4arch9wavefront6targetE1EEEvSF_ ; -- Begin function _ZN7rocprim17ROCPRIM_400000_NS6detail17trampoline_kernelINS0_14default_configENS1_22reduce_config_selectorIfEEZNS1_11reduce_implILb1ES3_PfS7_fN6thrust23THRUST_200600_302600_NS4plusIfEEEE10hipError_tPvRmT1_T2_T3_mT4_P12ihipStream_tbEUlT_E1_NS1_11comp_targetILNS1_3genE10ELNS1_11target_archE1201ELNS1_3gpuE5ELNS1_3repE0EEENS1_30default_config_static_selectorELNS0_4arch9wavefront6targetE1EEEvSF_
	.globl	_ZN7rocprim17ROCPRIM_400000_NS6detail17trampoline_kernelINS0_14default_configENS1_22reduce_config_selectorIfEEZNS1_11reduce_implILb1ES3_PfS7_fN6thrust23THRUST_200600_302600_NS4plusIfEEEE10hipError_tPvRmT1_T2_T3_mT4_P12ihipStream_tbEUlT_E1_NS1_11comp_targetILNS1_3genE10ELNS1_11target_archE1201ELNS1_3gpuE5ELNS1_3repE0EEENS1_30default_config_static_selectorELNS0_4arch9wavefront6targetE1EEEvSF_
	.p2align	8
	.type	_ZN7rocprim17ROCPRIM_400000_NS6detail17trampoline_kernelINS0_14default_configENS1_22reduce_config_selectorIfEEZNS1_11reduce_implILb1ES3_PfS7_fN6thrust23THRUST_200600_302600_NS4plusIfEEEE10hipError_tPvRmT1_T2_T3_mT4_P12ihipStream_tbEUlT_E1_NS1_11comp_targetILNS1_3genE10ELNS1_11target_archE1201ELNS1_3gpuE5ELNS1_3repE0EEENS1_30default_config_static_selectorELNS0_4arch9wavefront6targetE1EEEvSF_,@function
_ZN7rocprim17ROCPRIM_400000_NS6detail17trampoline_kernelINS0_14default_configENS1_22reduce_config_selectorIfEEZNS1_11reduce_implILb1ES3_PfS7_fN6thrust23THRUST_200600_302600_NS4plusIfEEEE10hipError_tPvRmT1_T2_T3_mT4_P12ihipStream_tbEUlT_E1_NS1_11comp_targetILNS1_3genE10ELNS1_11target_archE1201ELNS1_3gpuE5ELNS1_3repE0EEENS1_30default_config_static_selectorELNS0_4arch9wavefront6targetE1EEEvSF_: ; @_ZN7rocprim17ROCPRIM_400000_NS6detail17trampoline_kernelINS0_14default_configENS1_22reduce_config_selectorIfEEZNS1_11reduce_implILb1ES3_PfS7_fN6thrust23THRUST_200600_302600_NS4plusIfEEEE10hipError_tPvRmT1_T2_T3_mT4_P12ihipStream_tbEUlT_E1_NS1_11comp_targetILNS1_3genE10ELNS1_11target_archE1201ELNS1_3gpuE5ELNS1_3repE0EEENS1_30default_config_static_selectorELNS0_4arch9wavefront6targetE1EEEvSF_
; %bb.0:
	.section	.rodata,"a",@progbits
	.p2align	6, 0x0
	.amdhsa_kernel _ZN7rocprim17ROCPRIM_400000_NS6detail17trampoline_kernelINS0_14default_configENS1_22reduce_config_selectorIfEEZNS1_11reduce_implILb1ES3_PfS7_fN6thrust23THRUST_200600_302600_NS4plusIfEEEE10hipError_tPvRmT1_T2_T3_mT4_P12ihipStream_tbEUlT_E1_NS1_11comp_targetILNS1_3genE10ELNS1_11target_archE1201ELNS1_3gpuE5ELNS1_3repE0EEENS1_30default_config_static_selectorELNS0_4arch9wavefront6targetE1EEEvSF_
		.amdhsa_group_segment_fixed_size 0
		.amdhsa_private_segment_fixed_size 0
		.amdhsa_kernarg_size 40
		.amdhsa_user_sgpr_count 6
		.amdhsa_user_sgpr_private_segment_buffer 1
		.amdhsa_user_sgpr_dispatch_ptr 0
		.amdhsa_user_sgpr_queue_ptr 0
		.amdhsa_user_sgpr_kernarg_segment_ptr 1
		.amdhsa_user_sgpr_dispatch_id 0
		.amdhsa_user_sgpr_flat_scratch_init 0
		.amdhsa_user_sgpr_private_segment_size 0
		.amdhsa_uses_dynamic_stack 0
		.amdhsa_system_sgpr_private_segment_wavefront_offset 0
		.amdhsa_system_sgpr_workgroup_id_x 1
		.amdhsa_system_sgpr_workgroup_id_y 0
		.amdhsa_system_sgpr_workgroup_id_z 0
		.amdhsa_system_sgpr_workgroup_info 0
		.amdhsa_system_vgpr_workitem_id 0
		.amdhsa_next_free_vgpr 1
		.amdhsa_next_free_sgpr 0
		.amdhsa_reserve_vcc 0
		.amdhsa_reserve_flat_scratch 0
		.amdhsa_float_round_mode_32 0
		.amdhsa_float_round_mode_16_64 0
		.amdhsa_float_denorm_mode_32 3
		.amdhsa_float_denorm_mode_16_64 3
		.amdhsa_dx10_clamp 1
		.amdhsa_ieee_mode 1
		.amdhsa_fp16_overflow 0
		.amdhsa_exception_fp_ieee_invalid_op 0
		.amdhsa_exception_fp_denorm_src 0
		.amdhsa_exception_fp_ieee_div_zero 0
		.amdhsa_exception_fp_ieee_overflow 0
		.amdhsa_exception_fp_ieee_underflow 0
		.amdhsa_exception_fp_ieee_inexact 0
		.amdhsa_exception_int_div_zero 0
	.end_amdhsa_kernel
	.section	.text._ZN7rocprim17ROCPRIM_400000_NS6detail17trampoline_kernelINS0_14default_configENS1_22reduce_config_selectorIfEEZNS1_11reduce_implILb1ES3_PfS7_fN6thrust23THRUST_200600_302600_NS4plusIfEEEE10hipError_tPvRmT1_T2_T3_mT4_P12ihipStream_tbEUlT_E1_NS1_11comp_targetILNS1_3genE10ELNS1_11target_archE1201ELNS1_3gpuE5ELNS1_3repE0EEENS1_30default_config_static_selectorELNS0_4arch9wavefront6targetE1EEEvSF_,"axG",@progbits,_ZN7rocprim17ROCPRIM_400000_NS6detail17trampoline_kernelINS0_14default_configENS1_22reduce_config_selectorIfEEZNS1_11reduce_implILb1ES3_PfS7_fN6thrust23THRUST_200600_302600_NS4plusIfEEEE10hipError_tPvRmT1_T2_T3_mT4_P12ihipStream_tbEUlT_E1_NS1_11comp_targetILNS1_3genE10ELNS1_11target_archE1201ELNS1_3gpuE5ELNS1_3repE0EEENS1_30default_config_static_selectorELNS0_4arch9wavefront6targetE1EEEvSF_,comdat
.Lfunc_end14:
	.size	_ZN7rocprim17ROCPRIM_400000_NS6detail17trampoline_kernelINS0_14default_configENS1_22reduce_config_selectorIfEEZNS1_11reduce_implILb1ES3_PfS7_fN6thrust23THRUST_200600_302600_NS4plusIfEEEE10hipError_tPvRmT1_T2_T3_mT4_P12ihipStream_tbEUlT_E1_NS1_11comp_targetILNS1_3genE10ELNS1_11target_archE1201ELNS1_3gpuE5ELNS1_3repE0EEENS1_30default_config_static_selectorELNS0_4arch9wavefront6targetE1EEEvSF_, .Lfunc_end14-_ZN7rocprim17ROCPRIM_400000_NS6detail17trampoline_kernelINS0_14default_configENS1_22reduce_config_selectorIfEEZNS1_11reduce_implILb1ES3_PfS7_fN6thrust23THRUST_200600_302600_NS4plusIfEEEE10hipError_tPvRmT1_T2_T3_mT4_P12ihipStream_tbEUlT_E1_NS1_11comp_targetILNS1_3genE10ELNS1_11target_archE1201ELNS1_3gpuE5ELNS1_3repE0EEENS1_30default_config_static_selectorELNS0_4arch9wavefront6targetE1EEEvSF_
                                        ; -- End function
	.set _ZN7rocprim17ROCPRIM_400000_NS6detail17trampoline_kernelINS0_14default_configENS1_22reduce_config_selectorIfEEZNS1_11reduce_implILb1ES3_PfS7_fN6thrust23THRUST_200600_302600_NS4plusIfEEEE10hipError_tPvRmT1_T2_T3_mT4_P12ihipStream_tbEUlT_E1_NS1_11comp_targetILNS1_3genE10ELNS1_11target_archE1201ELNS1_3gpuE5ELNS1_3repE0EEENS1_30default_config_static_selectorELNS0_4arch9wavefront6targetE1EEEvSF_.num_vgpr, 0
	.set _ZN7rocprim17ROCPRIM_400000_NS6detail17trampoline_kernelINS0_14default_configENS1_22reduce_config_selectorIfEEZNS1_11reduce_implILb1ES3_PfS7_fN6thrust23THRUST_200600_302600_NS4plusIfEEEE10hipError_tPvRmT1_T2_T3_mT4_P12ihipStream_tbEUlT_E1_NS1_11comp_targetILNS1_3genE10ELNS1_11target_archE1201ELNS1_3gpuE5ELNS1_3repE0EEENS1_30default_config_static_selectorELNS0_4arch9wavefront6targetE1EEEvSF_.num_agpr, 0
	.set _ZN7rocprim17ROCPRIM_400000_NS6detail17trampoline_kernelINS0_14default_configENS1_22reduce_config_selectorIfEEZNS1_11reduce_implILb1ES3_PfS7_fN6thrust23THRUST_200600_302600_NS4plusIfEEEE10hipError_tPvRmT1_T2_T3_mT4_P12ihipStream_tbEUlT_E1_NS1_11comp_targetILNS1_3genE10ELNS1_11target_archE1201ELNS1_3gpuE5ELNS1_3repE0EEENS1_30default_config_static_selectorELNS0_4arch9wavefront6targetE1EEEvSF_.numbered_sgpr, 0
	.set _ZN7rocprim17ROCPRIM_400000_NS6detail17trampoline_kernelINS0_14default_configENS1_22reduce_config_selectorIfEEZNS1_11reduce_implILb1ES3_PfS7_fN6thrust23THRUST_200600_302600_NS4plusIfEEEE10hipError_tPvRmT1_T2_T3_mT4_P12ihipStream_tbEUlT_E1_NS1_11comp_targetILNS1_3genE10ELNS1_11target_archE1201ELNS1_3gpuE5ELNS1_3repE0EEENS1_30default_config_static_selectorELNS0_4arch9wavefront6targetE1EEEvSF_.num_named_barrier, 0
	.set _ZN7rocprim17ROCPRIM_400000_NS6detail17trampoline_kernelINS0_14default_configENS1_22reduce_config_selectorIfEEZNS1_11reduce_implILb1ES3_PfS7_fN6thrust23THRUST_200600_302600_NS4plusIfEEEE10hipError_tPvRmT1_T2_T3_mT4_P12ihipStream_tbEUlT_E1_NS1_11comp_targetILNS1_3genE10ELNS1_11target_archE1201ELNS1_3gpuE5ELNS1_3repE0EEENS1_30default_config_static_selectorELNS0_4arch9wavefront6targetE1EEEvSF_.private_seg_size, 0
	.set _ZN7rocprim17ROCPRIM_400000_NS6detail17trampoline_kernelINS0_14default_configENS1_22reduce_config_selectorIfEEZNS1_11reduce_implILb1ES3_PfS7_fN6thrust23THRUST_200600_302600_NS4plusIfEEEE10hipError_tPvRmT1_T2_T3_mT4_P12ihipStream_tbEUlT_E1_NS1_11comp_targetILNS1_3genE10ELNS1_11target_archE1201ELNS1_3gpuE5ELNS1_3repE0EEENS1_30default_config_static_selectorELNS0_4arch9wavefront6targetE1EEEvSF_.uses_vcc, 0
	.set _ZN7rocprim17ROCPRIM_400000_NS6detail17trampoline_kernelINS0_14default_configENS1_22reduce_config_selectorIfEEZNS1_11reduce_implILb1ES3_PfS7_fN6thrust23THRUST_200600_302600_NS4plusIfEEEE10hipError_tPvRmT1_T2_T3_mT4_P12ihipStream_tbEUlT_E1_NS1_11comp_targetILNS1_3genE10ELNS1_11target_archE1201ELNS1_3gpuE5ELNS1_3repE0EEENS1_30default_config_static_selectorELNS0_4arch9wavefront6targetE1EEEvSF_.uses_flat_scratch, 0
	.set _ZN7rocprim17ROCPRIM_400000_NS6detail17trampoline_kernelINS0_14default_configENS1_22reduce_config_selectorIfEEZNS1_11reduce_implILb1ES3_PfS7_fN6thrust23THRUST_200600_302600_NS4plusIfEEEE10hipError_tPvRmT1_T2_T3_mT4_P12ihipStream_tbEUlT_E1_NS1_11comp_targetILNS1_3genE10ELNS1_11target_archE1201ELNS1_3gpuE5ELNS1_3repE0EEENS1_30default_config_static_selectorELNS0_4arch9wavefront6targetE1EEEvSF_.has_dyn_sized_stack, 0
	.set _ZN7rocprim17ROCPRIM_400000_NS6detail17trampoline_kernelINS0_14default_configENS1_22reduce_config_selectorIfEEZNS1_11reduce_implILb1ES3_PfS7_fN6thrust23THRUST_200600_302600_NS4plusIfEEEE10hipError_tPvRmT1_T2_T3_mT4_P12ihipStream_tbEUlT_E1_NS1_11comp_targetILNS1_3genE10ELNS1_11target_archE1201ELNS1_3gpuE5ELNS1_3repE0EEENS1_30default_config_static_selectorELNS0_4arch9wavefront6targetE1EEEvSF_.has_recursion, 0
	.set _ZN7rocprim17ROCPRIM_400000_NS6detail17trampoline_kernelINS0_14default_configENS1_22reduce_config_selectorIfEEZNS1_11reduce_implILb1ES3_PfS7_fN6thrust23THRUST_200600_302600_NS4plusIfEEEE10hipError_tPvRmT1_T2_T3_mT4_P12ihipStream_tbEUlT_E1_NS1_11comp_targetILNS1_3genE10ELNS1_11target_archE1201ELNS1_3gpuE5ELNS1_3repE0EEENS1_30default_config_static_selectorELNS0_4arch9wavefront6targetE1EEEvSF_.has_indirect_call, 0
	.section	.AMDGPU.csdata,"",@progbits
; Kernel info:
; codeLenInByte = 0
; TotalNumSgprs: 4
; NumVgprs: 0
; ScratchSize: 0
; MemoryBound: 0
; FloatMode: 240
; IeeeMode: 1
; LDSByteSize: 0 bytes/workgroup (compile time only)
; SGPRBlocks: 0
; VGPRBlocks: 0
; NumSGPRsForWavesPerEU: 4
; NumVGPRsForWavesPerEU: 1
; Occupancy: 10
; WaveLimiterHint : 0
; COMPUTE_PGM_RSRC2:SCRATCH_EN: 0
; COMPUTE_PGM_RSRC2:USER_SGPR: 6
; COMPUTE_PGM_RSRC2:TRAP_HANDLER: 0
; COMPUTE_PGM_RSRC2:TGID_X_EN: 1
; COMPUTE_PGM_RSRC2:TGID_Y_EN: 0
; COMPUTE_PGM_RSRC2:TGID_Z_EN: 0
; COMPUTE_PGM_RSRC2:TIDIG_COMP_CNT: 0
	.section	.text._ZN7rocprim17ROCPRIM_400000_NS6detail17trampoline_kernelINS0_14default_configENS1_22reduce_config_selectorIfEEZNS1_11reduce_implILb1ES3_PfS7_fN6thrust23THRUST_200600_302600_NS4plusIfEEEE10hipError_tPvRmT1_T2_T3_mT4_P12ihipStream_tbEUlT_E1_NS1_11comp_targetILNS1_3genE10ELNS1_11target_archE1200ELNS1_3gpuE4ELNS1_3repE0EEENS1_30default_config_static_selectorELNS0_4arch9wavefront6targetE1EEEvSF_,"axG",@progbits,_ZN7rocprim17ROCPRIM_400000_NS6detail17trampoline_kernelINS0_14default_configENS1_22reduce_config_selectorIfEEZNS1_11reduce_implILb1ES3_PfS7_fN6thrust23THRUST_200600_302600_NS4plusIfEEEE10hipError_tPvRmT1_T2_T3_mT4_P12ihipStream_tbEUlT_E1_NS1_11comp_targetILNS1_3genE10ELNS1_11target_archE1200ELNS1_3gpuE4ELNS1_3repE0EEENS1_30default_config_static_selectorELNS0_4arch9wavefront6targetE1EEEvSF_,comdat
	.protected	_ZN7rocprim17ROCPRIM_400000_NS6detail17trampoline_kernelINS0_14default_configENS1_22reduce_config_selectorIfEEZNS1_11reduce_implILb1ES3_PfS7_fN6thrust23THRUST_200600_302600_NS4plusIfEEEE10hipError_tPvRmT1_T2_T3_mT4_P12ihipStream_tbEUlT_E1_NS1_11comp_targetILNS1_3genE10ELNS1_11target_archE1200ELNS1_3gpuE4ELNS1_3repE0EEENS1_30default_config_static_selectorELNS0_4arch9wavefront6targetE1EEEvSF_ ; -- Begin function _ZN7rocprim17ROCPRIM_400000_NS6detail17trampoline_kernelINS0_14default_configENS1_22reduce_config_selectorIfEEZNS1_11reduce_implILb1ES3_PfS7_fN6thrust23THRUST_200600_302600_NS4plusIfEEEE10hipError_tPvRmT1_T2_T3_mT4_P12ihipStream_tbEUlT_E1_NS1_11comp_targetILNS1_3genE10ELNS1_11target_archE1200ELNS1_3gpuE4ELNS1_3repE0EEENS1_30default_config_static_selectorELNS0_4arch9wavefront6targetE1EEEvSF_
	.globl	_ZN7rocprim17ROCPRIM_400000_NS6detail17trampoline_kernelINS0_14default_configENS1_22reduce_config_selectorIfEEZNS1_11reduce_implILb1ES3_PfS7_fN6thrust23THRUST_200600_302600_NS4plusIfEEEE10hipError_tPvRmT1_T2_T3_mT4_P12ihipStream_tbEUlT_E1_NS1_11comp_targetILNS1_3genE10ELNS1_11target_archE1200ELNS1_3gpuE4ELNS1_3repE0EEENS1_30default_config_static_selectorELNS0_4arch9wavefront6targetE1EEEvSF_
	.p2align	8
	.type	_ZN7rocprim17ROCPRIM_400000_NS6detail17trampoline_kernelINS0_14default_configENS1_22reduce_config_selectorIfEEZNS1_11reduce_implILb1ES3_PfS7_fN6thrust23THRUST_200600_302600_NS4plusIfEEEE10hipError_tPvRmT1_T2_T3_mT4_P12ihipStream_tbEUlT_E1_NS1_11comp_targetILNS1_3genE10ELNS1_11target_archE1200ELNS1_3gpuE4ELNS1_3repE0EEENS1_30default_config_static_selectorELNS0_4arch9wavefront6targetE1EEEvSF_,@function
_ZN7rocprim17ROCPRIM_400000_NS6detail17trampoline_kernelINS0_14default_configENS1_22reduce_config_selectorIfEEZNS1_11reduce_implILb1ES3_PfS7_fN6thrust23THRUST_200600_302600_NS4plusIfEEEE10hipError_tPvRmT1_T2_T3_mT4_P12ihipStream_tbEUlT_E1_NS1_11comp_targetILNS1_3genE10ELNS1_11target_archE1200ELNS1_3gpuE4ELNS1_3repE0EEENS1_30default_config_static_selectorELNS0_4arch9wavefront6targetE1EEEvSF_: ; @_ZN7rocprim17ROCPRIM_400000_NS6detail17trampoline_kernelINS0_14default_configENS1_22reduce_config_selectorIfEEZNS1_11reduce_implILb1ES3_PfS7_fN6thrust23THRUST_200600_302600_NS4plusIfEEEE10hipError_tPvRmT1_T2_T3_mT4_P12ihipStream_tbEUlT_E1_NS1_11comp_targetILNS1_3genE10ELNS1_11target_archE1200ELNS1_3gpuE4ELNS1_3repE0EEENS1_30default_config_static_selectorELNS0_4arch9wavefront6targetE1EEEvSF_
; %bb.0:
	.section	.rodata,"a",@progbits
	.p2align	6, 0x0
	.amdhsa_kernel _ZN7rocprim17ROCPRIM_400000_NS6detail17trampoline_kernelINS0_14default_configENS1_22reduce_config_selectorIfEEZNS1_11reduce_implILb1ES3_PfS7_fN6thrust23THRUST_200600_302600_NS4plusIfEEEE10hipError_tPvRmT1_T2_T3_mT4_P12ihipStream_tbEUlT_E1_NS1_11comp_targetILNS1_3genE10ELNS1_11target_archE1200ELNS1_3gpuE4ELNS1_3repE0EEENS1_30default_config_static_selectorELNS0_4arch9wavefront6targetE1EEEvSF_
		.amdhsa_group_segment_fixed_size 0
		.amdhsa_private_segment_fixed_size 0
		.amdhsa_kernarg_size 40
		.amdhsa_user_sgpr_count 6
		.amdhsa_user_sgpr_private_segment_buffer 1
		.amdhsa_user_sgpr_dispatch_ptr 0
		.amdhsa_user_sgpr_queue_ptr 0
		.amdhsa_user_sgpr_kernarg_segment_ptr 1
		.amdhsa_user_sgpr_dispatch_id 0
		.amdhsa_user_sgpr_flat_scratch_init 0
		.amdhsa_user_sgpr_private_segment_size 0
		.amdhsa_uses_dynamic_stack 0
		.amdhsa_system_sgpr_private_segment_wavefront_offset 0
		.amdhsa_system_sgpr_workgroup_id_x 1
		.amdhsa_system_sgpr_workgroup_id_y 0
		.amdhsa_system_sgpr_workgroup_id_z 0
		.amdhsa_system_sgpr_workgroup_info 0
		.amdhsa_system_vgpr_workitem_id 0
		.amdhsa_next_free_vgpr 1
		.amdhsa_next_free_sgpr 0
		.amdhsa_reserve_vcc 0
		.amdhsa_reserve_flat_scratch 0
		.amdhsa_float_round_mode_32 0
		.amdhsa_float_round_mode_16_64 0
		.amdhsa_float_denorm_mode_32 3
		.amdhsa_float_denorm_mode_16_64 3
		.amdhsa_dx10_clamp 1
		.amdhsa_ieee_mode 1
		.amdhsa_fp16_overflow 0
		.amdhsa_exception_fp_ieee_invalid_op 0
		.amdhsa_exception_fp_denorm_src 0
		.amdhsa_exception_fp_ieee_div_zero 0
		.amdhsa_exception_fp_ieee_overflow 0
		.amdhsa_exception_fp_ieee_underflow 0
		.amdhsa_exception_fp_ieee_inexact 0
		.amdhsa_exception_int_div_zero 0
	.end_amdhsa_kernel
	.section	.text._ZN7rocprim17ROCPRIM_400000_NS6detail17trampoline_kernelINS0_14default_configENS1_22reduce_config_selectorIfEEZNS1_11reduce_implILb1ES3_PfS7_fN6thrust23THRUST_200600_302600_NS4plusIfEEEE10hipError_tPvRmT1_T2_T3_mT4_P12ihipStream_tbEUlT_E1_NS1_11comp_targetILNS1_3genE10ELNS1_11target_archE1200ELNS1_3gpuE4ELNS1_3repE0EEENS1_30default_config_static_selectorELNS0_4arch9wavefront6targetE1EEEvSF_,"axG",@progbits,_ZN7rocprim17ROCPRIM_400000_NS6detail17trampoline_kernelINS0_14default_configENS1_22reduce_config_selectorIfEEZNS1_11reduce_implILb1ES3_PfS7_fN6thrust23THRUST_200600_302600_NS4plusIfEEEE10hipError_tPvRmT1_T2_T3_mT4_P12ihipStream_tbEUlT_E1_NS1_11comp_targetILNS1_3genE10ELNS1_11target_archE1200ELNS1_3gpuE4ELNS1_3repE0EEENS1_30default_config_static_selectorELNS0_4arch9wavefront6targetE1EEEvSF_,comdat
.Lfunc_end15:
	.size	_ZN7rocprim17ROCPRIM_400000_NS6detail17trampoline_kernelINS0_14default_configENS1_22reduce_config_selectorIfEEZNS1_11reduce_implILb1ES3_PfS7_fN6thrust23THRUST_200600_302600_NS4plusIfEEEE10hipError_tPvRmT1_T2_T3_mT4_P12ihipStream_tbEUlT_E1_NS1_11comp_targetILNS1_3genE10ELNS1_11target_archE1200ELNS1_3gpuE4ELNS1_3repE0EEENS1_30default_config_static_selectorELNS0_4arch9wavefront6targetE1EEEvSF_, .Lfunc_end15-_ZN7rocprim17ROCPRIM_400000_NS6detail17trampoline_kernelINS0_14default_configENS1_22reduce_config_selectorIfEEZNS1_11reduce_implILb1ES3_PfS7_fN6thrust23THRUST_200600_302600_NS4plusIfEEEE10hipError_tPvRmT1_T2_T3_mT4_P12ihipStream_tbEUlT_E1_NS1_11comp_targetILNS1_3genE10ELNS1_11target_archE1200ELNS1_3gpuE4ELNS1_3repE0EEENS1_30default_config_static_selectorELNS0_4arch9wavefront6targetE1EEEvSF_
                                        ; -- End function
	.set _ZN7rocprim17ROCPRIM_400000_NS6detail17trampoline_kernelINS0_14default_configENS1_22reduce_config_selectorIfEEZNS1_11reduce_implILb1ES3_PfS7_fN6thrust23THRUST_200600_302600_NS4plusIfEEEE10hipError_tPvRmT1_T2_T3_mT4_P12ihipStream_tbEUlT_E1_NS1_11comp_targetILNS1_3genE10ELNS1_11target_archE1200ELNS1_3gpuE4ELNS1_3repE0EEENS1_30default_config_static_selectorELNS0_4arch9wavefront6targetE1EEEvSF_.num_vgpr, 0
	.set _ZN7rocprim17ROCPRIM_400000_NS6detail17trampoline_kernelINS0_14default_configENS1_22reduce_config_selectorIfEEZNS1_11reduce_implILb1ES3_PfS7_fN6thrust23THRUST_200600_302600_NS4plusIfEEEE10hipError_tPvRmT1_T2_T3_mT4_P12ihipStream_tbEUlT_E1_NS1_11comp_targetILNS1_3genE10ELNS1_11target_archE1200ELNS1_3gpuE4ELNS1_3repE0EEENS1_30default_config_static_selectorELNS0_4arch9wavefront6targetE1EEEvSF_.num_agpr, 0
	.set _ZN7rocprim17ROCPRIM_400000_NS6detail17trampoline_kernelINS0_14default_configENS1_22reduce_config_selectorIfEEZNS1_11reduce_implILb1ES3_PfS7_fN6thrust23THRUST_200600_302600_NS4plusIfEEEE10hipError_tPvRmT1_T2_T3_mT4_P12ihipStream_tbEUlT_E1_NS1_11comp_targetILNS1_3genE10ELNS1_11target_archE1200ELNS1_3gpuE4ELNS1_3repE0EEENS1_30default_config_static_selectorELNS0_4arch9wavefront6targetE1EEEvSF_.numbered_sgpr, 0
	.set _ZN7rocprim17ROCPRIM_400000_NS6detail17trampoline_kernelINS0_14default_configENS1_22reduce_config_selectorIfEEZNS1_11reduce_implILb1ES3_PfS7_fN6thrust23THRUST_200600_302600_NS4plusIfEEEE10hipError_tPvRmT1_T2_T3_mT4_P12ihipStream_tbEUlT_E1_NS1_11comp_targetILNS1_3genE10ELNS1_11target_archE1200ELNS1_3gpuE4ELNS1_3repE0EEENS1_30default_config_static_selectorELNS0_4arch9wavefront6targetE1EEEvSF_.num_named_barrier, 0
	.set _ZN7rocprim17ROCPRIM_400000_NS6detail17trampoline_kernelINS0_14default_configENS1_22reduce_config_selectorIfEEZNS1_11reduce_implILb1ES3_PfS7_fN6thrust23THRUST_200600_302600_NS4plusIfEEEE10hipError_tPvRmT1_T2_T3_mT4_P12ihipStream_tbEUlT_E1_NS1_11comp_targetILNS1_3genE10ELNS1_11target_archE1200ELNS1_3gpuE4ELNS1_3repE0EEENS1_30default_config_static_selectorELNS0_4arch9wavefront6targetE1EEEvSF_.private_seg_size, 0
	.set _ZN7rocprim17ROCPRIM_400000_NS6detail17trampoline_kernelINS0_14default_configENS1_22reduce_config_selectorIfEEZNS1_11reduce_implILb1ES3_PfS7_fN6thrust23THRUST_200600_302600_NS4plusIfEEEE10hipError_tPvRmT1_T2_T3_mT4_P12ihipStream_tbEUlT_E1_NS1_11comp_targetILNS1_3genE10ELNS1_11target_archE1200ELNS1_3gpuE4ELNS1_3repE0EEENS1_30default_config_static_selectorELNS0_4arch9wavefront6targetE1EEEvSF_.uses_vcc, 0
	.set _ZN7rocprim17ROCPRIM_400000_NS6detail17trampoline_kernelINS0_14default_configENS1_22reduce_config_selectorIfEEZNS1_11reduce_implILb1ES3_PfS7_fN6thrust23THRUST_200600_302600_NS4plusIfEEEE10hipError_tPvRmT1_T2_T3_mT4_P12ihipStream_tbEUlT_E1_NS1_11comp_targetILNS1_3genE10ELNS1_11target_archE1200ELNS1_3gpuE4ELNS1_3repE0EEENS1_30default_config_static_selectorELNS0_4arch9wavefront6targetE1EEEvSF_.uses_flat_scratch, 0
	.set _ZN7rocprim17ROCPRIM_400000_NS6detail17trampoline_kernelINS0_14default_configENS1_22reduce_config_selectorIfEEZNS1_11reduce_implILb1ES3_PfS7_fN6thrust23THRUST_200600_302600_NS4plusIfEEEE10hipError_tPvRmT1_T2_T3_mT4_P12ihipStream_tbEUlT_E1_NS1_11comp_targetILNS1_3genE10ELNS1_11target_archE1200ELNS1_3gpuE4ELNS1_3repE0EEENS1_30default_config_static_selectorELNS0_4arch9wavefront6targetE1EEEvSF_.has_dyn_sized_stack, 0
	.set _ZN7rocprim17ROCPRIM_400000_NS6detail17trampoline_kernelINS0_14default_configENS1_22reduce_config_selectorIfEEZNS1_11reduce_implILb1ES3_PfS7_fN6thrust23THRUST_200600_302600_NS4plusIfEEEE10hipError_tPvRmT1_T2_T3_mT4_P12ihipStream_tbEUlT_E1_NS1_11comp_targetILNS1_3genE10ELNS1_11target_archE1200ELNS1_3gpuE4ELNS1_3repE0EEENS1_30default_config_static_selectorELNS0_4arch9wavefront6targetE1EEEvSF_.has_recursion, 0
	.set _ZN7rocprim17ROCPRIM_400000_NS6detail17trampoline_kernelINS0_14default_configENS1_22reduce_config_selectorIfEEZNS1_11reduce_implILb1ES3_PfS7_fN6thrust23THRUST_200600_302600_NS4plusIfEEEE10hipError_tPvRmT1_T2_T3_mT4_P12ihipStream_tbEUlT_E1_NS1_11comp_targetILNS1_3genE10ELNS1_11target_archE1200ELNS1_3gpuE4ELNS1_3repE0EEENS1_30default_config_static_selectorELNS0_4arch9wavefront6targetE1EEEvSF_.has_indirect_call, 0
	.section	.AMDGPU.csdata,"",@progbits
; Kernel info:
; codeLenInByte = 0
; TotalNumSgprs: 4
; NumVgprs: 0
; ScratchSize: 0
; MemoryBound: 0
; FloatMode: 240
; IeeeMode: 1
; LDSByteSize: 0 bytes/workgroup (compile time only)
; SGPRBlocks: 0
; VGPRBlocks: 0
; NumSGPRsForWavesPerEU: 4
; NumVGPRsForWavesPerEU: 1
; Occupancy: 10
; WaveLimiterHint : 0
; COMPUTE_PGM_RSRC2:SCRATCH_EN: 0
; COMPUTE_PGM_RSRC2:USER_SGPR: 6
; COMPUTE_PGM_RSRC2:TRAP_HANDLER: 0
; COMPUTE_PGM_RSRC2:TGID_X_EN: 1
; COMPUTE_PGM_RSRC2:TGID_Y_EN: 0
; COMPUTE_PGM_RSRC2:TGID_Z_EN: 0
; COMPUTE_PGM_RSRC2:TIDIG_COMP_CNT: 0
	.section	.text._ZN7rocprim17ROCPRIM_400000_NS6detail17trampoline_kernelINS0_14default_configENS1_22reduce_config_selectorIfEEZNS1_11reduce_implILb1ES3_PfS7_fN6thrust23THRUST_200600_302600_NS4plusIfEEEE10hipError_tPvRmT1_T2_T3_mT4_P12ihipStream_tbEUlT_E1_NS1_11comp_targetILNS1_3genE9ELNS1_11target_archE1100ELNS1_3gpuE3ELNS1_3repE0EEENS1_30default_config_static_selectorELNS0_4arch9wavefront6targetE1EEEvSF_,"axG",@progbits,_ZN7rocprim17ROCPRIM_400000_NS6detail17trampoline_kernelINS0_14default_configENS1_22reduce_config_selectorIfEEZNS1_11reduce_implILb1ES3_PfS7_fN6thrust23THRUST_200600_302600_NS4plusIfEEEE10hipError_tPvRmT1_T2_T3_mT4_P12ihipStream_tbEUlT_E1_NS1_11comp_targetILNS1_3genE9ELNS1_11target_archE1100ELNS1_3gpuE3ELNS1_3repE0EEENS1_30default_config_static_selectorELNS0_4arch9wavefront6targetE1EEEvSF_,comdat
	.protected	_ZN7rocprim17ROCPRIM_400000_NS6detail17trampoline_kernelINS0_14default_configENS1_22reduce_config_selectorIfEEZNS1_11reduce_implILb1ES3_PfS7_fN6thrust23THRUST_200600_302600_NS4plusIfEEEE10hipError_tPvRmT1_T2_T3_mT4_P12ihipStream_tbEUlT_E1_NS1_11comp_targetILNS1_3genE9ELNS1_11target_archE1100ELNS1_3gpuE3ELNS1_3repE0EEENS1_30default_config_static_selectorELNS0_4arch9wavefront6targetE1EEEvSF_ ; -- Begin function _ZN7rocprim17ROCPRIM_400000_NS6detail17trampoline_kernelINS0_14default_configENS1_22reduce_config_selectorIfEEZNS1_11reduce_implILb1ES3_PfS7_fN6thrust23THRUST_200600_302600_NS4plusIfEEEE10hipError_tPvRmT1_T2_T3_mT4_P12ihipStream_tbEUlT_E1_NS1_11comp_targetILNS1_3genE9ELNS1_11target_archE1100ELNS1_3gpuE3ELNS1_3repE0EEENS1_30default_config_static_selectorELNS0_4arch9wavefront6targetE1EEEvSF_
	.globl	_ZN7rocprim17ROCPRIM_400000_NS6detail17trampoline_kernelINS0_14default_configENS1_22reduce_config_selectorIfEEZNS1_11reduce_implILb1ES3_PfS7_fN6thrust23THRUST_200600_302600_NS4plusIfEEEE10hipError_tPvRmT1_T2_T3_mT4_P12ihipStream_tbEUlT_E1_NS1_11comp_targetILNS1_3genE9ELNS1_11target_archE1100ELNS1_3gpuE3ELNS1_3repE0EEENS1_30default_config_static_selectorELNS0_4arch9wavefront6targetE1EEEvSF_
	.p2align	8
	.type	_ZN7rocprim17ROCPRIM_400000_NS6detail17trampoline_kernelINS0_14default_configENS1_22reduce_config_selectorIfEEZNS1_11reduce_implILb1ES3_PfS7_fN6thrust23THRUST_200600_302600_NS4plusIfEEEE10hipError_tPvRmT1_T2_T3_mT4_P12ihipStream_tbEUlT_E1_NS1_11comp_targetILNS1_3genE9ELNS1_11target_archE1100ELNS1_3gpuE3ELNS1_3repE0EEENS1_30default_config_static_selectorELNS0_4arch9wavefront6targetE1EEEvSF_,@function
_ZN7rocprim17ROCPRIM_400000_NS6detail17trampoline_kernelINS0_14default_configENS1_22reduce_config_selectorIfEEZNS1_11reduce_implILb1ES3_PfS7_fN6thrust23THRUST_200600_302600_NS4plusIfEEEE10hipError_tPvRmT1_T2_T3_mT4_P12ihipStream_tbEUlT_E1_NS1_11comp_targetILNS1_3genE9ELNS1_11target_archE1100ELNS1_3gpuE3ELNS1_3repE0EEENS1_30default_config_static_selectorELNS0_4arch9wavefront6targetE1EEEvSF_: ; @_ZN7rocprim17ROCPRIM_400000_NS6detail17trampoline_kernelINS0_14default_configENS1_22reduce_config_selectorIfEEZNS1_11reduce_implILb1ES3_PfS7_fN6thrust23THRUST_200600_302600_NS4plusIfEEEE10hipError_tPvRmT1_T2_T3_mT4_P12ihipStream_tbEUlT_E1_NS1_11comp_targetILNS1_3genE9ELNS1_11target_archE1100ELNS1_3gpuE3ELNS1_3repE0EEENS1_30default_config_static_selectorELNS0_4arch9wavefront6targetE1EEEvSF_
; %bb.0:
	.section	.rodata,"a",@progbits
	.p2align	6, 0x0
	.amdhsa_kernel _ZN7rocprim17ROCPRIM_400000_NS6detail17trampoline_kernelINS0_14default_configENS1_22reduce_config_selectorIfEEZNS1_11reduce_implILb1ES3_PfS7_fN6thrust23THRUST_200600_302600_NS4plusIfEEEE10hipError_tPvRmT1_T2_T3_mT4_P12ihipStream_tbEUlT_E1_NS1_11comp_targetILNS1_3genE9ELNS1_11target_archE1100ELNS1_3gpuE3ELNS1_3repE0EEENS1_30default_config_static_selectorELNS0_4arch9wavefront6targetE1EEEvSF_
		.amdhsa_group_segment_fixed_size 0
		.amdhsa_private_segment_fixed_size 0
		.amdhsa_kernarg_size 40
		.amdhsa_user_sgpr_count 6
		.amdhsa_user_sgpr_private_segment_buffer 1
		.amdhsa_user_sgpr_dispatch_ptr 0
		.amdhsa_user_sgpr_queue_ptr 0
		.amdhsa_user_sgpr_kernarg_segment_ptr 1
		.amdhsa_user_sgpr_dispatch_id 0
		.amdhsa_user_sgpr_flat_scratch_init 0
		.amdhsa_user_sgpr_private_segment_size 0
		.amdhsa_uses_dynamic_stack 0
		.amdhsa_system_sgpr_private_segment_wavefront_offset 0
		.amdhsa_system_sgpr_workgroup_id_x 1
		.amdhsa_system_sgpr_workgroup_id_y 0
		.amdhsa_system_sgpr_workgroup_id_z 0
		.amdhsa_system_sgpr_workgroup_info 0
		.amdhsa_system_vgpr_workitem_id 0
		.amdhsa_next_free_vgpr 1
		.amdhsa_next_free_sgpr 0
		.amdhsa_reserve_vcc 0
		.amdhsa_reserve_flat_scratch 0
		.amdhsa_float_round_mode_32 0
		.amdhsa_float_round_mode_16_64 0
		.amdhsa_float_denorm_mode_32 3
		.amdhsa_float_denorm_mode_16_64 3
		.amdhsa_dx10_clamp 1
		.amdhsa_ieee_mode 1
		.amdhsa_fp16_overflow 0
		.amdhsa_exception_fp_ieee_invalid_op 0
		.amdhsa_exception_fp_denorm_src 0
		.amdhsa_exception_fp_ieee_div_zero 0
		.amdhsa_exception_fp_ieee_overflow 0
		.amdhsa_exception_fp_ieee_underflow 0
		.amdhsa_exception_fp_ieee_inexact 0
		.amdhsa_exception_int_div_zero 0
	.end_amdhsa_kernel
	.section	.text._ZN7rocprim17ROCPRIM_400000_NS6detail17trampoline_kernelINS0_14default_configENS1_22reduce_config_selectorIfEEZNS1_11reduce_implILb1ES3_PfS7_fN6thrust23THRUST_200600_302600_NS4plusIfEEEE10hipError_tPvRmT1_T2_T3_mT4_P12ihipStream_tbEUlT_E1_NS1_11comp_targetILNS1_3genE9ELNS1_11target_archE1100ELNS1_3gpuE3ELNS1_3repE0EEENS1_30default_config_static_selectorELNS0_4arch9wavefront6targetE1EEEvSF_,"axG",@progbits,_ZN7rocprim17ROCPRIM_400000_NS6detail17trampoline_kernelINS0_14default_configENS1_22reduce_config_selectorIfEEZNS1_11reduce_implILb1ES3_PfS7_fN6thrust23THRUST_200600_302600_NS4plusIfEEEE10hipError_tPvRmT1_T2_T3_mT4_P12ihipStream_tbEUlT_E1_NS1_11comp_targetILNS1_3genE9ELNS1_11target_archE1100ELNS1_3gpuE3ELNS1_3repE0EEENS1_30default_config_static_selectorELNS0_4arch9wavefront6targetE1EEEvSF_,comdat
.Lfunc_end16:
	.size	_ZN7rocprim17ROCPRIM_400000_NS6detail17trampoline_kernelINS0_14default_configENS1_22reduce_config_selectorIfEEZNS1_11reduce_implILb1ES3_PfS7_fN6thrust23THRUST_200600_302600_NS4plusIfEEEE10hipError_tPvRmT1_T2_T3_mT4_P12ihipStream_tbEUlT_E1_NS1_11comp_targetILNS1_3genE9ELNS1_11target_archE1100ELNS1_3gpuE3ELNS1_3repE0EEENS1_30default_config_static_selectorELNS0_4arch9wavefront6targetE1EEEvSF_, .Lfunc_end16-_ZN7rocprim17ROCPRIM_400000_NS6detail17trampoline_kernelINS0_14default_configENS1_22reduce_config_selectorIfEEZNS1_11reduce_implILb1ES3_PfS7_fN6thrust23THRUST_200600_302600_NS4plusIfEEEE10hipError_tPvRmT1_T2_T3_mT4_P12ihipStream_tbEUlT_E1_NS1_11comp_targetILNS1_3genE9ELNS1_11target_archE1100ELNS1_3gpuE3ELNS1_3repE0EEENS1_30default_config_static_selectorELNS0_4arch9wavefront6targetE1EEEvSF_
                                        ; -- End function
	.set _ZN7rocprim17ROCPRIM_400000_NS6detail17trampoline_kernelINS0_14default_configENS1_22reduce_config_selectorIfEEZNS1_11reduce_implILb1ES3_PfS7_fN6thrust23THRUST_200600_302600_NS4plusIfEEEE10hipError_tPvRmT1_T2_T3_mT4_P12ihipStream_tbEUlT_E1_NS1_11comp_targetILNS1_3genE9ELNS1_11target_archE1100ELNS1_3gpuE3ELNS1_3repE0EEENS1_30default_config_static_selectorELNS0_4arch9wavefront6targetE1EEEvSF_.num_vgpr, 0
	.set _ZN7rocprim17ROCPRIM_400000_NS6detail17trampoline_kernelINS0_14default_configENS1_22reduce_config_selectorIfEEZNS1_11reduce_implILb1ES3_PfS7_fN6thrust23THRUST_200600_302600_NS4plusIfEEEE10hipError_tPvRmT1_T2_T3_mT4_P12ihipStream_tbEUlT_E1_NS1_11comp_targetILNS1_3genE9ELNS1_11target_archE1100ELNS1_3gpuE3ELNS1_3repE0EEENS1_30default_config_static_selectorELNS0_4arch9wavefront6targetE1EEEvSF_.num_agpr, 0
	.set _ZN7rocprim17ROCPRIM_400000_NS6detail17trampoline_kernelINS0_14default_configENS1_22reduce_config_selectorIfEEZNS1_11reduce_implILb1ES3_PfS7_fN6thrust23THRUST_200600_302600_NS4plusIfEEEE10hipError_tPvRmT1_T2_T3_mT4_P12ihipStream_tbEUlT_E1_NS1_11comp_targetILNS1_3genE9ELNS1_11target_archE1100ELNS1_3gpuE3ELNS1_3repE0EEENS1_30default_config_static_selectorELNS0_4arch9wavefront6targetE1EEEvSF_.numbered_sgpr, 0
	.set _ZN7rocprim17ROCPRIM_400000_NS6detail17trampoline_kernelINS0_14default_configENS1_22reduce_config_selectorIfEEZNS1_11reduce_implILb1ES3_PfS7_fN6thrust23THRUST_200600_302600_NS4plusIfEEEE10hipError_tPvRmT1_T2_T3_mT4_P12ihipStream_tbEUlT_E1_NS1_11comp_targetILNS1_3genE9ELNS1_11target_archE1100ELNS1_3gpuE3ELNS1_3repE0EEENS1_30default_config_static_selectorELNS0_4arch9wavefront6targetE1EEEvSF_.num_named_barrier, 0
	.set _ZN7rocprim17ROCPRIM_400000_NS6detail17trampoline_kernelINS0_14default_configENS1_22reduce_config_selectorIfEEZNS1_11reduce_implILb1ES3_PfS7_fN6thrust23THRUST_200600_302600_NS4plusIfEEEE10hipError_tPvRmT1_T2_T3_mT4_P12ihipStream_tbEUlT_E1_NS1_11comp_targetILNS1_3genE9ELNS1_11target_archE1100ELNS1_3gpuE3ELNS1_3repE0EEENS1_30default_config_static_selectorELNS0_4arch9wavefront6targetE1EEEvSF_.private_seg_size, 0
	.set _ZN7rocprim17ROCPRIM_400000_NS6detail17trampoline_kernelINS0_14default_configENS1_22reduce_config_selectorIfEEZNS1_11reduce_implILb1ES3_PfS7_fN6thrust23THRUST_200600_302600_NS4plusIfEEEE10hipError_tPvRmT1_T2_T3_mT4_P12ihipStream_tbEUlT_E1_NS1_11comp_targetILNS1_3genE9ELNS1_11target_archE1100ELNS1_3gpuE3ELNS1_3repE0EEENS1_30default_config_static_selectorELNS0_4arch9wavefront6targetE1EEEvSF_.uses_vcc, 0
	.set _ZN7rocprim17ROCPRIM_400000_NS6detail17trampoline_kernelINS0_14default_configENS1_22reduce_config_selectorIfEEZNS1_11reduce_implILb1ES3_PfS7_fN6thrust23THRUST_200600_302600_NS4plusIfEEEE10hipError_tPvRmT1_T2_T3_mT4_P12ihipStream_tbEUlT_E1_NS1_11comp_targetILNS1_3genE9ELNS1_11target_archE1100ELNS1_3gpuE3ELNS1_3repE0EEENS1_30default_config_static_selectorELNS0_4arch9wavefront6targetE1EEEvSF_.uses_flat_scratch, 0
	.set _ZN7rocprim17ROCPRIM_400000_NS6detail17trampoline_kernelINS0_14default_configENS1_22reduce_config_selectorIfEEZNS1_11reduce_implILb1ES3_PfS7_fN6thrust23THRUST_200600_302600_NS4plusIfEEEE10hipError_tPvRmT1_T2_T3_mT4_P12ihipStream_tbEUlT_E1_NS1_11comp_targetILNS1_3genE9ELNS1_11target_archE1100ELNS1_3gpuE3ELNS1_3repE0EEENS1_30default_config_static_selectorELNS0_4arch9wavefront6targetE1EEEvSF_.has_dyn_sized_stack, 0
	.set _ZN7rocprim17ROCPRIM_400000_NS6detail17trampoline_kernelINS0_14default_configENS1_22reduce_config_selectorIfEEZNS1_11reduce_implILb1ES3_PfS7_fN6thrust23THRUST_200600_302600_NS4plusIfEEEE10hipError_tPvRmT1_T2_T3_mT4_P12ihipStream_tbEUlT_E1_NS1_11comp_targetILNS1_3genE9ELNS1_11target_archE1100ELNS1_3gpuE3ELNS1_3repE0EEENS1_30default_config_static_selectorELNS0_4arch9wavefront6targetE1EEEvSF_.has_recursion, 0
	.set _ZN7rocprim17ROCPRIM_400000_NS6detail17trampoline_kernelINS0_14default_configENS1_22reduce_config_selectorIfEEZNS1_11reduce_implILb1ES3_PfS7_fN6thrust23THRUST_200600_302600_NS4plusIfEEEE10hipError_tPvRmT1_T2_T3_mT4_P12ihipStream_tbEUlT_E1_NS1_11comp_targetILNS1_3genE9ELNS1_11target_archE1100ELNS1_3gpuE3ELNS1_3repE0EEENS1_30default_config_static_selectorELNS0_4arch9wavefront6targetE1EEEvSF_.has_indirect_call, 0
	.section	.AMDGPU.csdata,"",@progbits
; Kernel info:
; codeLenInByte = 0
; TotalNumSgprs: 4
; NumVgprs: 0
; ScratchSize: 0
; MemoryBound: 0
; FloatMode: 240
; IeeeMode: 1
; LDSByteSize: 0 bytes/workgroup (compile time only)
; SGPRBlocks: 0
; VGPRBlocks: 0
; NumSGPRsForWavesPerEU: 4
; NumVGPRsForWavesPerEU: 1
; Occupancy: 10
; WaveLimiterHint : 0
; COMPUTE_PGM_RSRC2:SCRATCH_EN: 0
; COMPUTE_PGM_RSRC2:USER_SGPR: 6
; COMPUTE_PGM_RSRC2:TRAP_HANDLER: 0
; COMPUTE_PGM_RSRC2:TGID_X_EN: 1
; COMPUTE_PGM_RSRC2:TGID_Y_EN: 0
; COMPUTE_PGM_RSRC2:TGID_Z_EN: 0
; COMPUTE_PGM_RSRC2:TIDIG_COMP_CNT: 0
	.section	.text._ZN7rocprim17ROCPRIM_400000_NS6detail17trampoline_kernelINS0_14default_configENS1_22reduce_config_selectorIfEEZNS1_11reduce_implILb1ES3_PfS7_fN6thrust23THRUST_200600_302600_NS4plusIfEEEE10hipError_tPvRmT1_T2_T3_mT4_P12ihipStream_tbEUlT_E1_NS1_11comp_targetILNS1_3genE8ELNS1_11target_archE1030ELNS1_3gpuE2ELNS1_3repE0EEENS1_30default_config_static_selectorELNS0_4arch9wavefront6targetE1EEEvSF_,"axG",@progbits,_ZN7rocprim17ROCPRIM_400000_NS6detail17trampoline_kernelINS0_14default_configENS1_22reduce_config_selectorIfEEZNS1_11reduce_implILb1ES3_PfS7_fN6thrust23THRUST_200600_302600_NS4plusIfEEEE10hipError_tPvRmT1_T2_T3_mT4_P12ihipStream_tbEUlT_E1_NS1_11comp_targetILNS1_3genE8ELNS1_11target_archE1030ELNS1_3gpuE2ELNS1_3repE0EEENS1_30default_config_static_selectorELNS0_4arch9wavefront6targetE1EEEvSF_,comdat
	.protected	_ZN7rocprim17ROCPRIM_400000_NS6detail17trampoline_kernelINS0_14default_configENS1_22reduce_config_selectorIfEEZNS1_11reduce_implILb1ES3_PfS7_fN6thrust23THRUST_200600_302600_NS4plusIfEEEE10hipError_tPvRmT1_T2_T3_mT4_P12ihipStream_tbEUlT_E1_NS1_11comp_targetILNS1_3genE8ELNS1_11target_archE1030ELNS1_3gpuE2ELNS1_3repE0EEENS1_30default_config_static_selectorELNS0_4arch9wavefront6targetE1EEEvSF_ ; -- Begin function _ZN7rocprim17ROCPRIM_400000_NS6detail17trampoline_kernelINS0_14default_configENS1_22reduce_config_selectorIfEEZNS1_11reduce_implILb1ES3_PfS7_fN6thrust23THRUST_200600_302600_NS4plusIfEEEE10hipError_tPvRmT1_T2_T3_mT4_P12ihipStream_tbEUlT_E1_NS1_11comp_targetILNS1_3genE8ELNS1_11target_archE1030ELNS1_3gpuE2ELNS1_3repE0EEENS1_30default_config_static_selectorELNS0_4arch9wavefront6targetE1EEEvSF_
	.globl	_ZN7rocprim17ROCPRIM_400000_NS6detail17trampoline_kernelINS0_14default_configENS1_22reduce_config_selectorIfEEZNS1_11reduce_implILb1ES3_PfS7_fN6thrust23THRUST_200600_302600_NS4plusIfEEEE10hipError_tPvRmT1_T2_T3_mT4_P12ihipStream_tbEUlT_E1_NS1_11comp_targetILNS1_3genE8ELNS1_11target_archE1030ELNS1_3gpuE2ELNS1_3repE0EEENS1_30default_config_static_selectorELNS0_4arch9wavefront6targetE1EEEvSF_
	.p2align	8
	.type	_ZN7rocprim17ROCPRIM_400000_NS6detail17trampoline_kernelINS0_14default_configENS1_22reduce_config_selectorIfEEZNS1_11reduce_implILb1ES3_PfS7_fN6thrust23THRUST_200600_302600_NS4plusIfEEEE10hipError_tPvRmT1_T2_T3_mT4_P12ihipStream_tbEUlT_E1_NS1_11comp_targetILNS1_3genE8ELNS1_11target_archE1030ELNS1_3gpuE2ELNS1_3repE0EEENS1_30default_config_static_selectorELNS0_4arch9wavefront6targetE1EEEvSF_,@function
_ZN7rocprim17ROCPRIM_400000_NS6detail17trampoline_kernelINS0_14default_configENS1_22reduce_config_selectorIfEEZNS1_11reduce_implILb1ES3_PfS7_fN6thrust23THRUST_200600_302600_NS4plusIfEEEE10hipError_tPvRmT1_T2_T3_mT4_P12ihipStream_tbEUlT_E1_NS1_11comp_targetILNS1_3genE8ELNS1_11target_archE1030ELNS1_3gpuE2ELNS1_3repE0EEENS1_30default_config_static_selectorELNS0_4arch9wavefront6targetE1EEEvSF_: ; @_ZN7rocprim17ROCPRIM_400000_NS6detail17trampoline_kernelINS0_14default_configENS1_22reduce_config_selectorIfEEZNS1_11reduce_implILb1ES3_PfS7_fN6thrust23THRUST_200600_302600_NS4plusIfEEEE10hipError_tPvRmT1_T2_T3_mT4_P12ihipStream_tbEUlT_E1_NS1_11comp_targetILNS1_3genE8ELNS1_11target_archE1030ELNS1_3gpuE2ELNS1_3repE0EEENS1_30default_config_static_selectorELNS0_4arch9wavefront6targetE1EEEvSF_
; %bb.0:
	.section	.rodata,"a",@progbits
	.p2align	6, 0x0
	.amdhsa_kernel _ZN7rocprim17ROCPRIM_400000_NS6detail17trampoline_kernelINS0_14default_configENS1_22reduce_config_selectorIfEEZNS1_11reduce_implILb1ES3_PfS7_fN6thrust23THRUST_200600_302600_NS4plusIfEEEE10hipError_tPvRmT1_T2_T3_mT4_P12ihipStream_tbEUlT_E1_NS1_11comp_targetILNS1_3genE8ELNS1_11target_archE1030ELNS1_3gpuE2ELNS1_3repE0EEENS1_30default_config_static_selectorELNS0_4arch9wavefront6targetE1EEEvSF_
		.amdhsa_group_segment_fixed_size 0
		.amdhsa_private_segment_fixed_size 0
		.amdhsa_kernarg_size 40
		.amdhsa_user_sgpr_count 6
		.amdhsa_user_sgpr_private_segment_buffer 1
		.amdhsa_user_sgpr_dispatch_ptr 0
		.amdhsa_user_sgpr_queue_ptr 0
		.amdhsa_user_sgpr_kernarg_segment_ptr 1
		.amdhsa_user_sgpr_dispatch_id 0
		.amdhsa_user_sgpr_flat_scratch_init 0
		.amdhsa_user_sgpr_private_segment_size 0
		.amdhsa_uses_dynamic_stack 0
		.amdhsa_system_sgpr_private_segment_wavefront_offset 0
		.amdhsa_system_sgpr_workgroup_id_x 1
		.amdhsa_system_sgpr_workgroup_id_y 0
		.amdhsa_system_sgpr_workgroup_id_z 0
		.amdhsa_system_sgpr_workgroup_info 0
		.amdhsa_system_vgpr_workitem_id 0
		.amdhsa_next_free_vgpr 1
		.amdhsa_next_free_sgpr 0
		.amdhsa_reserve_vcc 0
		.amdhsa_reserve_flat_scratch 0
		.amdhsa_float_round_mode_32 0
		.amdhsa_float_round_mode_16_64 0
		.amdhsa_float_denorm_mode_32 3
		.amdhsa_float_denorm_mode_16_64 3
		.amdhsa_dx10_clamp 1
		.amdhsa_ieee_mode 1
		.amdhsa_fp16_overflow 0
		.amdhsa_exception_fp_ieee_invalid_op 0
		.amdhsa_exception_fp_denorm_src 0
		.amdhsa_exception_fp_ieee_div_zero 0
		.amdhsa_exception_fp_ieee_overflow 0
		.amdhsa_exception_fp_ieee_underflow 0
		.amdhsa_exception_fp_ieee_inexact 0
		.amdhsa_exception_int_div_zero 0
	.end_amdhsa_kernel
	.section	.text._ZN7rocprim17ROCPRIM_400000_NS6detail17trampoline_kernelINS0_14default_configENS1_22reduce_config_selectorIfEEZNS1_11reduce_implILb1ES3_PfS7_fN6thrust23THRUST_200600_302600_NS4plusIfEEEE10hipError_tPvRmT1_T2_T3_mT4_P12ihipStream_tbEUlT_E1_NS1_11comp_targetILNS1_3genE8ELNS1_11target_archE1030ELNS1_3gpuE2ELNS1_3repE0EEENS1_30default_config_static_selectorELNS0_4arch9wavefront6targetE1EEEvSF_,"axG",@progbits,_ZN7rocprim17ROCPRIM_400000_NS6detail17trampoline_kernelINS0_14default_configENS1_22reduce_config_selectorIfEEZNS1_11reduce_implILb1ES3_PfS7_fN6thrust23THRUST_200600_302600_NS4plusIfEEEE10hipError_tPvRmT1_T2_T3_mT4_P12ihipStream_tbEUlT_E1_NS1_11comp_targetILNS1_3genE8ELNS1_11target_archE1030ELNS1_3gpuE2ELNS1_3repE0EEENS1_30default_config_static_selectorELNS0_4arch9wavefront6targetE1EEEvSF_,comdat
.Lfunc_end17:
	.size	_ZN7rocprim17ROCPRIM_400000_NS6detail17trampoline_kernelINS0_14default_configENS1_22reduce_config_selectorIfEEZNS1_11reduce_implILb1ES3_PfS7_fN6thrust23THRUST_200600_302600_NS4plusIfEEEE10hipError_tPvRmT1_T2_T3_mT4_P12ihipStream_tbEUlT_E1_NS1_11comp_targetILNS1_3genE8ELNS1_11target_archE1030ELNS1_3gpuE2ELNS1_3repE0EEENS1_30default_config_static_selectorELNS0_4arch9wavefront6targetE1EEEvSF_, .Lfunc_end17-_ZN7rocprim17ROCPRIM_400000_NS6detail17trampoline_kernelINS0_14default_configENS1_22reduce_config_selectorIfEEZNS1_11reduce_implILb1ES3_PfS7_fN6thrust23THRUST_200600_302600_NS4plusIfEEEE10hipError_tPvRmT1_T2_T3_mT4_P12ihipStream_tbEUlT_E1_NS1_11comp_targetILNS1_3genE8ELNS1_11target_archE1030ELNS1_3gpuE2ELNS1_3repE0EEENS1_30default_config_static_selectorELNS0_4arch9wavefront6targetE1EEEvSF_
                                        ; -- End function
	.set _ZN7rocprim17ROCPRIM_400000_NS6detail17trampoline_kernelINS0_14default_configENS1_22reduce_config_selectorIfEEZNS1_11reduce_implILb1ES3_PfS7_fN6thrust23THRUST_200600_302600_NS4plusIfEEEE10hipError_tPvRmT1_T2_T3_mT4_P12ihipStream_tbEUlT_E1_NS1_11comp_targetILNS1_3genE8ELNS1_11target_archE1030ELNS1_3gpuE2ELNS1_3repE0EEENS1_30default_config_static_selectorELNS0_4arch9wavefront6targetE1EEEvSF_.num_vgpr, 0
	.set _ZN7rocprim17ROCPRIM_400000_NS6detail17trampoline_kernelINS0_14default_configENS1_22reduce_config_selectorIfEEZNS1_11reduce_implILb1ES3_PfS7_fN6thrust23THRUST_200600_302600_NS4plusIfEEEE10hipError_tPvRmT1_T2_T3_mT4_P12ihipStream_tbEUlT_E1_NS1_11comp_targetILNS1_3genE8ELNS1_11target_archE1030ELNS1_3gpuE2ELNS1_3repE0EEENS1_30default_config_static_selectorELNS0_4arch9wavefront6targetE1EEEvSF_.num_agpr, 0
	.set _ZN7rocprim17ROCPRIM_400000_NS6detail17trampoline_kernelINS0_14default_configENS1_22reduce_config_selectorIfEEZNS1_11reduce_implILb1ES3_PfS7_fN6thrust23THRUST_200600_302600_NS4plusIfEEEE10hipError_tPvRmT1_T2_T3_mT4_P12ihipStream_tbEUlT_E1_NS1_11comp_targetILNS1_3genE8ELNS1_11target_archE1030ELNS1_3gpuE2ELNS1_3repE0EEENS1_30default_config_static_selectorELNS0_4arch9wavefront6targetE1EEEvSF_.numbered_sgpr, 0
	.set _ZN7rocprim17ROCPRIM_400000_NS6detail17trampoline_kernelINS0_14default_configENS1_22reduce_config_selectorIfEEZNS1_11reduce_implILb1ES3_PfS7_fN6thrust23THRUST_200600_302600_NS4plusIfEEEE10hipError_tPvRmT1_T2_T3_mT4_P12ihipStream_tbEUlT_E1_NS1_11comp_targetILNS1_3genE8ELNS1_11target_archE1030ELNS1_3gpuE2ELNS1_3repE0EEENS1_30default_config_static_selectorELNS0_4arch9wavefront6targetE1EEEvSF_.num_named_barrier, 0
	.set _ZN7rocprim17ROCPRIM_400000_NS6detail17trampoline_kernelINS0_14default_configENS1_22reduce_config_selectorIfEEZNS1_11reduce_implILb1ES3_PfS7_fN6thrust23THRUST_200600_302600_NS4plusIfEEEE10hipError_tPvRmT1_T2_T3_mT4_P12ihipStream_tbEUlT_E1_NS1_11comp_targetILNS1_3genE8ELNS1_11target_archE1030ELNS1_3gpuE2ELNS1_3repE0EEENS1_30default_config_static_selectorELNS0_4arch9wavefront6targetE1EEEvSF_.private_seg_size, 0
	.set _ZN7rocprim17ROCPRIM_400000_NS6detail17trampoline_kernelINS0_14default_configENS1_22reduce_config_selectorIfEEZNS1_11reduce_implILb1ES3_PfS7_fN6thrust23THRUST_200600_302600_NS4plusIfEEEE10hipError_tPvRmT1_T2_T3_mT4_P12ihipStream_tbEUlT_E1_NS1_11comp_targetILNS1_3genE8ELNS1_11target_archE1030ELNS1_3gpuE2ELNS1_3repE0EEENS1_30default_config_static_selectorELNS0_4arch9wavefront6targetE1EEEvSF_.uses_vcc, 0
	.set _ZN7rocprim17ROCPRIM_400000_NS6detail17trampoline_kernelINS0_14default_configENS1_22reduce_config_selectorIfEEZNS1_11reduce_implILb1ES3_PfS7_fN6thrust23THRUST_200600_302600_NS4plusIfEEEE10hipError_tPvRmT1_T2_T3_mT4_P12ihipStream_tbEUlT_E1_NS1_11comp_targetILNS1_3genE8ELNS1_11target_archE1030ELNS1_3gpuE2ELNS1_3repE0EEENS1_30default_config_static_selectorELNS0_4arch9wavefront6targetE1EEEvSF_.uses_flat_scratch, 0
	.set _ZN7rocprim17ROCPRIM_400000_NS6detail17trampoline_kernelINS0_14default_configENS1_22reduce_config_selectorIfEEZNS1_11reduce_implILb1ES3_PfS7_fN6thrust23THRUST_200600_302600_NS4plusIfEEEE10hipError_tPvRmT1_T2_T3_mT4_P12ihipStream_tbEUlT_E1_NS1_11comp_targetILNS1_3genE8ELNS1_11target_archE1030ELNS1_3gpuE2ELNS1_3repE0EEENS1_30default_config_static_selectorELNS0_4arch9wavefront6targetE1EEEvSF_.has_dyn_sized_stack, 0
	.set _ZN7rocprim17ROCPRIM_400000_NS6detail17trampoline_kernelINS0_14default_configENS1_22reduce_config_selectorIfEEZNS1_11reduce_implILb1ES3_PfS7_fN6thrust23THRUST_200600_302600_NS4plusIfEEEE10hipError_tPvRmT1_T2_T3_mT4_P12ihipStream_tbEUlT_E1_NS1_11comp_targetILNS1_3genE8ELNS1_11target_archE1030ELNS1_3gpuE2ELNS1_3repE0EEENS1_30default_config_static_selectorELNS0_4arch9wavefront6targetE1EEEvSF_.has_recursion, 0
	.set _ZN7rocprim17ROCPRIM_400000_NS6detail17trampoline_kernelINS0_14default_configENS1_22reduce_config_selectorIfEEZNS1_11reduce_implILb1ES3_PfS7_fN6thrust23THRUST_200600_302600_NS4plusIfEEEE10hipError_tPvRmT1_T2_T3_mT4_P12ihipStream_tbEUlT_E1_NS1_11comp_targetILNS1_3genE8ELNS1_11target_archE1030ELNS1_3gpuE2ELNS1_3repE0EEENS1_30default_config_static_selectorELNS0_4arch9wavefront6targetE1EEEvSF_.has_indirect_call, 0
	.section	.AMDGPU.csdata,"",@progbits
; Kernel info:
; codeLenInByte = 0
; TotalNumSgprs: 4
; NumVgprs: 0
; ScratchSize: 0
; MemoryBound: 0
; FloatMode: 240
; IeeeMode: 1
; LDSByteSize: 0 bytes/workgroup (compile time only)
; SGPRBlocks: 0
; VGPRBlocks: 0
; NumSGPRsForWavesPerEU: 4
; NumVGPRsForWavesPerEU: 1
; Occupancy: 10
; WaveLimiterHint : 0
; COMPUTE_PGM_RSRC2:SCRATCH_EN: 0
; COMPUTE_PGM_RSRC2:USER_SGPR: 6
; COMPUTE_PGM_RSRC2:TRAP_HANDLER: 0
; COMPUTE_PGM_RSRC2:TGID_X_EN: 1
; COMPUTE_PGM_RSRC2:TGID_Y_EN: 0
; COMPUTE_PGM_RSRC2:TGID_Z_EN: 0
; COMPUTE_PGM_RSRC2:TIDIG_COMP_CNT: 0
	.section	.text._ZN7rocprim17ROCPRIM_400000_NS6detail17trampoline_kernelINS0_14default_configENS1_22reduce_config_selectorIfEEZNS1_11reduce_implILb1ES3_N6thrust23THRUST_200600_302600_NS11hip_rocprim26transform_input_iterator_tIfNS8_17counting_iteratorIiNS8_11use_defaultESC_SC_EE11estimate_piEEPffNS8_4plusIfEEEE10hipError_tPvRmT1_T2_T3_mT4_P12ihipStream_tbEUlT_E0_NS1_11comp_targetILNS1_3genE0ELNS1_11target_archE4294967295ELNS1_3gpuE0ELNS1_3repE0EEENS1_30default_config_static_selectorELNS0_4arch9wavefront6targetE1EEEvSM_,"axG",@progbits,_ZN7rocprim17ROCPRIM_400000_NS6detail17trampoline_kernelINS0_14default_configENS1_22reduce_config_selectorIfEEZNS1_11reduce_implILb1ES3_N6thrust23THRUST_200600_302600_NS11hip_rocprim26transform_input_iterator_tIfNS8_17counting_iteratorIiNS8_11use_defaultESC_SC_EE11estimate_piEEPffNS8_4plusIfEEEE10hipError_tPvRmT1_T2_T3_mT4_P12ihipStream_tbEUlT_E0_NS1_11comp_targetILNS1_3genE0ELNS1_11target_archE4294967295ELNS1_3gpuE0ELNS1_3repE0EEENS1_30default_config_static_selectorELNS0_4arch9wavefront6targetE1EEEvSM_,comdat
	.protected	_ZN7rocprim17ROCPRIM_400000_NS6detail17trampoline_kernelINS0_14default_configENS1_22reduce_config_selectorIfEEZNS1_11reduce_implILb1ES3_N6thrust23THRUST_200600_302600_NS11hip_rocprim26transform_input_iterator_tIfNS8_17counting_iteratorIiNS8_11use_defaultESC_SC_EE11estimate_piEEPffNS8_4plusIfEEEE10hipError_tPvRmT1_T2_T3_mT4_P12ihipStream_tbEUlT_E0_NS1_11comp_targetILNS1_3genE0ELNS1_11target_archE4294967295ELNS1_3gpuE0ELNS1_3repE0EEENS1_30default_config_static_selectorELNS0_4arch9wavefront6targetE1EEEvSM_ ; -- Begin function _ZN7rocprim17ROCPRIM_400000_NS6detail17trampoline_kernelINS0_14default_configENS1_22reduce_config_selectorIfEEZNS1_11reduce_implILb1ES3_N6thrust23THRUST_200600_302600_NS11hip_rocprim26transform_input_iterator_tIfNS8_17counting_iteratorIiNS8_11use_defaultESC_SC_EE11estimate_piEEPffNS8_4plusIfEEEE10hipError_tPvRmT1_T2_T3_mT4_P12ihipStream_tbEUlT_E0_NS1_11comp_targetILNS1_3genE0ELNS1_11target_archE4294967295ELNS1_3gpuE0ELNS1_3repE0EEENS1_30default_config_static_selectorELNS0_4arch9wavefront6targetE1EEEvSM_
	.globl	_ZN7rocprim17ROCPRIM_400000_NS6detail17trampoline_kernelINS0_14default_configENS1_22reduce_config_selectorIfEEZNS1_11reduce_implILb1ES3_N6thrust23THRUST_200600_302600_NS11hip_rocprim26transform_input_iterator_tIfNS8_17counting_iteratorIiNS8_11use_defaultESC_SC_EE11estimate_piEEPffNS8_4plusIfEEEE10hipError_tPvRmT1_T2_T3_mT4_P12ihipStream_tbEUlT_E0_NS1_11comp_targetILNS1_3genE0ELNS1_11target_archE4294967295ELNS1_3gpuE0ELNS1_3repE0EEENS1_30default_config_static_selectorELNS0_4arch9wavefront6targetE1EEEvSM_
	.p2align	8
	.type	_ZN7rocprim17ROCPRIM_400000_NS6detail17trampoline_kernelINS0_14default_configENS1_22reduce_config_selectorIfEEZNS1_11reduce_implILb1ES3_N6thrust23THRUST_200600_302600_NS11hip_rocprim26transform_input_iterator_tIfNS8_17counting_iteratorIiNS8_11use_defaultESC_SC_EE11estimate_piEEPffNS8_4plusIfEEEE10hipError_tPvRmT1_T2_T3_mT4_P12ihipStream_tbEUlT_E0_NS1_11comp_targetILNS1_3genE0ELNS1_11target_archE4294967295ELNS1_3gpuE0ELNS1_3repE0EEENS1_30default_config_static_selectorELNS0_4arch9wavefront6targetE1EEEvSM_,@function
_ZN7rocprim17ROCPRIM_400000_NS6detail17trampoline_kernelINS0_14default_configENS1_22reduce_config_selectorIfEEZNS1_11reduce_implILb1ES3_N6thrust23THRUST_200600_302600_NS11hip_rocprim26transform_input_iterator_tIfNS8_17counting_iteratorIiNS8_11use_defaultESC_SC_EE11estimate_piEEPffNS8_4plusIfEEEE10hipError_tPvRmT1_T2_T3_mT4_P12ihipStream_tbEUlT_E0_NS1_11comp_targetILNS1_3genE0ELNS1_11target_archE4294967295ELNS1_3gpuE0ELNS1_3repE0EEENS1_30default_config_static_selectorELNS0_4arch9wavefront6targetE1EEEvSM_: ; @_ZN7rocprim17ROCPRIM_400000_NS6detail17trampoline_kernelINS0_14default_configENS1_22reduce_config_selectorIfEEZNS1_11reduce_implILb1ES3_N6thrust23THRUST_200600_302600_NS11hip_rocprim26transform_input_iterator_tIfNS8_17counting_iteratorIiNS8_11use_defaultESC_SC_EE11estimate_piEEPffNS8_4plusIfEEEE10hipError_tPvRmT1_T2_T3_mT4_P12ihipStream_tbEUlT_E0_NS1_11comp_targetILNS1_3genE0ELNS1_11target_archE4294967295ELNS1_3gpuE0ELNS1_3repE0EEENS1_30default_config_static_selectorELNS0_4arch9wavefront6targetE1EEEvSM_
; %bb.0:
	.section	.rodata,"a",@progbits
	.p2align	6, 0x0
	.amdhsa_kernel _ZN7rocprim17ROCPRIM_400000_NS6detail17trampoline_kernelINS0_14default_configENS1_22reduce_config_selectorIfEEZNS1_11reduce_implILb1ES3_N6thrust23THRUST_200600_302600_NS11hip_rocprim26transform_input_iterator_tIfNS8_17counting_iteratorIiNS8_11use_defaultESC_SC_EE11estimate_piEEPffNS8_4plusIfEEEE10hipError_tPvRmT1_T2_T3_mT4_P12ihipStream_tbEUlT_E0_NS1_11comp_targetILNS1_3genE0ELNS1_11target_archE4294967295ELNS1_3gpuE0ELNS1_3repE0EEENS1_30default_config_static_selectorELNS0_4arch9wavefront6targetE1EEEvSM_
		.amdhsa_group_segment_fixed_size 0
		.amdhsa_private_segment_fixed_size 0
		.amdhsa_kernarg_size 56
		.amdhsa_user_sgpr_count 6
		.amdhsa_user_sgpr_private_segment_buffer 1
		.amdhsa_user_sgpr_dispatch_ptr 0
		.amdhsa_user_sgpr_queue_ptr 0
		.amdhsa_user_sgpr_kernarg_segment_ptr 1
		.amdhsa_user_sgpr_dispatch_id 0
		.amdhsa_user_sgpr_flat_scratch_init 0
		.amdhsa_user_sgpr_private_segment_size 0
		.amdhsa_uses_dynamic_stack 0
		.amdhsa_system_sgpr_private_segment_wavefront_offset 0
		.amdhsa_system_sgpr_workgroup_id_x 1
		.amdhsa_system_sgpr_workgroup_id_y 0
		.amdhsa_system_sgpr_workgroup_id_z 0
		.amdhsa_system_sgpr_workgroup_info 0
		.amdhsa_system_vgpr_workitem_id 0
		.amdhsa_next_free_vgpr 1
		.amdhsa_next_free_sgpr 0
		.amdhsa_reserve_vcc 0
		.amdhsa_reserve_flat_scratch 0
		.amdhsa_float_round_mode_32 0
		.amdhsa_float_round_mode_16_64 0
		.amdhsa_float_denorm_mode_32 3
		.amdhsa_float_denorm_mode_16_64 3
		.amdhsa_dx10_clamp 1
		.amdhsa_ieee_mode 1
		.amdhsa_fp16_overflow 0
		.amdhsa_exception_fp_ieee_invalid_op 0
		.amdhsa_exception_fp_denorm_src 0
		.amdhsa_exception_fp_ieee_div_zero 0
		.amdhsa_exception_fp_ieee_overflow 0
		.amdhsa_exception_fp_ieee_underflow 0
		.amdhsa_exception_fp_ieee_inexact 0
		.amdhsa_exception_int_div_zero 0
	.end_amdhsa_kernel
	.section	.text._ZN7rocprim17ROCPRIM_400000_NS6detail17trampoline_kernelINS0_14default_configENS1_22reduce_config_selectorIfEEZNS1_11reduce_implILb1ES3_N6thrust23THRUST_200600_302600_NS11hip_rocprim26transform_input_iterator_tIfNS8_17counting_iteratorIiNS8_11use_defaultESC_SC_EE11estimate_piEEPffNS8_4plusIfEEEE10hipError_tPvRmT1_T2_T3_mT4_P12ihipStream_tbEUlT_E0_NS1_11comp_targetILNS1_3genE0ELNS1_11target_archE4294967295ELNS1_3gpuE0ELNS1_3repE0EEENS1_30default_config_static_selectorELNS0_4arch9wavefront6targetE1EEEvSM_,"axG",@progbits,_ZN7rocprim17ROCPRIM_400000_NS6detail17trampoline_kernelINS0_14default_configENS1_22reduce_config_selectorIfEEZNS1_11reduce_implILb1ES3_N6thrust23THRUST_200600_302600_NS11hip_rocprim26transform_input_iterator_tIfNS8_17counting_iteratorIiNS8_11use_defaultESC_SC_EE11estimate_piEEPffNS8_4plusIfEEEE10hipError_tPvRmT1_T2_T3_mT4_P12ihipStream_tbEUlT_E0_NS1_11comp_targetILNS1_3genE0ELNS1_11target_archE4294967295ELNS1_3gpuE0ELNS1_3repE0EEENS1_30default_config_static_selectorELNS0_4arch9wavefront6targetE1EEEvSM_,comdat
.Lfunc_end18:
	.size	_ZN7rocprim17ROCPRIM_400000_NS6detail17trampoline_kernelINS0_14default_configENS1_22reduce_config_selectorIfEEZNS1_11reduce_implILb1ES3_N6thrust23THRUST_200600_302600_NS11hip_rocprim26transform_input_iterator_tIfNS8_17counting_iteratorIiNS8_11use_defaultESC_SC_EE11estimate_piEEPffNS8_4plusIfEEEE10hipError_tPvRmT1_T2_T3_mT4_P12ihipStream_tbEUlT_E0_NS1_11comp_targetILNS1_3genE0ELNS1_11target_archE4294967295ELNS1_3gpuE0ELNS1_3repE0EEENS1_30default_config_static_selectorELNS0_4arch9wavefront6targetE1EEEvSM_, .Lfunc_end18-_ZN7rocprim17ROCPRIM_400000_NS6detail17trampoline_kernelINS0_14default_configENS1_22reduce_config_selectorIfEEZNS1_11reduce_implILb1ES3_N6thrust23THRUST_200600_302600_NS11hip_rocprim26transform_input_iterator_tIfNS8_17counting_iteratorIiNS8_11use_defaultESC_SC_EE11estimate_piEEPffNS8_4plusIfEEEE10hipError_tPvRmT1_T2_T3_mT4_P12ihipStream_tbEUlT_E0_NS1_11comp_targetILNS1_3genE0ELNS1_11target_archE4294967295ELNS1_3gpuE0ELNS1_3repE0EEENS1_30default_config_static_selectorELNS0_4arch9wavefront6targetE1EEEvSM_
                                        ; -- End function
	.set _ZN7rocprim17ROCPRIM_400000_NS6detail17trampoline_kernelINS0_14default_configENS1_22reduce_config_selectorIfEEZNS1_11reduce_implILb1ES3_N6thrust23THRUST_200600_302600_NS11hip_rocprim26transform_input_iterator_tIfNS8_17counting_iteratorIiNS8_11use_defaultESC_SC_EE11estimate_piEEPffNS8_4plusIfEEEE10hipError_tPvRmT1_T2_T3_mT4_P12ihipStream_tbEUlT_E0_NS1_11comp_targetILNS1_3genE0ELNS1_11target_archE4294967295ELNS1_3gpuE0ELNS1_3repE0EEENS1_30default_config_static_selectorELNS0_4arch9wavefront6targetE1EEEvSM_.num_vgpr, 0
	.set _ZN7rocprim17ROCPRIM_400000_NS6detail17trampoline_kernelINS0_14default_configENS1_22reduce_config_selectorIfEEZNS1_11reduce_implILb1ES3_N6thrust23THRUST_200600_302600_NS11hip_rocprim26transform_input_iterator_tIfNS8_17counting_iteratorIiNS8_11use_defaultESC_SC_EE11estimate_piEEPffNS8_4plusIfEEEE10hipError_tPvRmT1_T2_T3_mT4_P12ihipStream_tbEUlT_E0_NS1_11comp_targetILNS1_3genE0ELNS1_11target_archE4294967295ELNS1_3gpuE0ELNS1_3repE0EEENS1_30default_config_static_selectorELNS0_4arch9wavefront6targetE1EEEvSM_.num_agpr, 0
	.set _ZN7rocprim17ROCPRIM_400000_NS6detail17trampoline_kernelINS0_14default_configENS1_22reduce_config_selectorIfEEZNS1_11reduce_implILb1ES3_N6thrust23THRUST_200600_302600_NS11hip_rocprim26transform_input_iterator_tIfNS8_17counting_iteratorIiNS8_11use_defaultESC_SC_EE11estimate_piEEPffNS8_4plusIfEEEE10hipError_tPvRmT1_T2_T3_mT4_P12ihipStream_tbEUlT_E0_NS1_11comp_targetILNS1_3genE0ELNS1_11target_archE4294967295ELNS1_3gpuE0ELNS1_3repE0EEENS1_30default_config_static_selectorELNS0_4arch9wavefront6targetE1EEEvSM_.numbered_sgpr, 0
	.set _ZN7rocprim17ROCPRIM_400000_NS6detail17trampoline_kernelINS0_14default_configENS1_22reduce_config_selectorIfEEZNS1_11reduce_implILb1ES3_N6thrust23THRUST_200600_302600_NS11hip_rocprim26transform_input_iterator_tIfNS8_17counting_iteratorIiNS8_11use_defaultESC_SC_EE11estimate_piEEPffNS8_4plusIfEEEE10hipError_tPvRmT1_T2_T3_mT4_P12ihipStream_tbEUlT_E0_NS1_11comp_targetILNS1_3genE0ELNS1_11target_archE4294967295ELNS1_3gpuE0ELNS1_3repE0EEENS1_30default_config_static_selectorELNS0_4arch9wavefront6targetE1EEEvSM_.num_named_barrier, 0
	.set _ZN7rocprim17ROCPRIM_400000_NS6detail17trampoline_kernelINS0_14default_configENS1_22reduce_config_selectorIfEEZNS1_11reduce_implILb1ES3_N6thrust23THRUST_200600_302600_NS11hip_rocprim26transform_input_iterator_tIfNS8_17counting_iteratorIiNS8_11use_defaultESC_SC_EE11estimate_piEEPffNS8_4plusIfEEEE10hipError_tPvRmT1_T2_T3_mT4_P12ihipStream_tbEUlT_E0_NS1_11comp_targetILNS1_3genE0ELNS1_11target_archE4294967295ELNS1_3gpuE0ELNS1_3repE0EEENS1_30default_config_static_selectorELNS0_4arch9wavefront6targetE1EEEvSM_.private_seg_size, 0
	.set _ZN7rocprim17ROCPRIM_400000_NS6detail17trampoline_kernelINS0_14default_configENS1_22reduce_config_selectorIfEEZNS1_11reduce_implILb1ES3_N6thrust23THRUST_200600_302600_NS11hip_rocprim26transform_input_iterator_tIfNS8_17counting_iteratorIiNS8_11use_defaultESC_SC_EE11estimate_piEEPffNS8_4plusIfEEEE10hipError_tPvRmT1_T2_T3_mT4_P12ihipStream_tbEUlT_E0_NS1_11comp_targetILNS1_3genE0ELNS1_11target_archE4294967295ELNS1_3gpuE0ELNS1_3repE0EEENS1_30default_config_static_selectorELNS0_4arch9wavefront6targetE1EEEvSM_.uses_vcc, 0
	.set _ZN7rocprim17ROCPRIM_400000_NS6detail17trampoline_kernelINS0_14default_configENS1_22reduce_config_selectorIfEEZNS1_11reduce_implILb1ES3_N6thrust23THRUST_200600_302600_NS11hip_rocprim26transform_input_iterator_tIfNS8_17counting_iteratorIiNS8_11use_defaultESC_SC_EE11estimate_piEEPffNS8_4plusIfEEEE10hipError_tPvRmT1_T2_T3_mT4_P12ihipStream_tbEUlT_E0_NS1_11comp_targetILNS1_3genE0ELNS1_11target_archE4294967295ELNS1_3gpuE0ELNS1_3repE0EEENS1_30default_config_static_selectorELNS0_4arch9wavefront6targetE1EEEvSM_.uses_flat_scratch, 0
	.set _ZN7rocprim17ROCPRIM_400000_NS6detail17trampoline_kernelINS0_14default_configENS1_22reduce_config_selectorIfEEZNS1_11reduce_implILb1ES3_N6thrust23THRUST_200600_302600_NS11hip_rocprim26transform_input_iterator_tIfNS8_17counting_iteratorIiNS8_11use_defaultESC_SC_EE11estimate_piEEPffNS8_4plusIfEEEE10hipError_tPvRmT1_T2_T3_mT4_P12ihipStream_tbEUlT_E0_NS1_11comp_targetILNS1_3genE0ELNS1_11target_archE4294967295ELNS1_3gpuE0ELNS1_3repE0EEENS1_30default_config_static_selectorELNS0_4arch9wavefront6targetE1EEEvSM_.has_dyn_sized_stack, 0
	.set _ZN7rocprim17ROCPRIM_400000_NS6detail17trampoline_kernelINS0_14default_configENS1_22reduce_config_selectorIfEEZNS1_11reduce_implILb1ES3_N6thrust23THRUST_200600_302600_NS11hip_rocprim26transform_input_iterator_tIfNS8_17counting_iteratorIiNS8_11use_defaultESC_SC_EE11estimate_piEEPffNS8_4plusIfEEEE10hipError_tPvRmT1_T2_T3_mT4_P12ihipStream_tbEUlT_E0_NS1_11comp_targetILNS1_3genE0ELNS1_11target_archE4294967295ELNS1_3gpuE0ELNS1_3repE0EEENS1_30default_config_static_selectorELNS0_4arch9wavefront6targetE1EEEvSM_.has_recursion, 0
	.set _ZN7rocprim17ROCPRIM_400000_NS6detail17trampoline_kernelINS0_14default_configENS1_22reduce_config_selectorIfEEZNS1_11reduce_implILb1ES3_N6thrust23THRUST_200600_302600_NS11hip_rocprim26transform_input_iterator_tIfNS8_17counting_iteratorIiNS8_11use_defaultESC_SC_EE11estimate_piEEPffNS8_4plusIfEEEE10hipError_tPvRmT1_T2_T3_mT4_P12ihipStream_tbEUlT_E0_NS1_11comp_targetILNS1_3genE0ELNS1_11target_archE4294967295ELNS1_3gpuE0ELNS1_3repE0EEENS1_30default_config_static_selectorELNS0_4arch9wavefront6targetE1EEEvSM_.has_indirect_call, 0
	.section	.AMDGPU.csdata,"",@progbits
; Kernel info:
; codeLenInByte = 0
; TotalNumSgprs: 4
; NumVgprs: 0
; ScratchSize: 0
; MemoryBound: 0
; FloatMode: 240
; IeeeMode: 1
; LDSByteSize: 0 bytes/workgroup (compile time only)
; SGPRBlocks: 0
; VGPRBlocks: 0
; NumSGPRsForWavesPerEU: 4
; NumVGPRsForWavesPerEU: 1
; Occupancy: 10
; WaveLimiterHint : 0
; COMPUTE_PGM_RSRC2:SCRATCH_EN: 0
; COMPUTE_PGM_RSRC2:USER_SGPR: 6
; COMPUTE_PGM_RSRC2:TRAP_HANDLER: 0
; COMPUTE_PGM_RSRC2:TGID_X_EN: 1
; COMPUTE_PGM_RSRC2:TGID_Y_EN: 0
; COMPUTE_PGM_RSRC2:TGID_Z_EN: 0
; COMPUTE_PGM_RSRC2:TIDIG_COMP_CNT: 0
	.section	.text._ZN7rocprim17ROCPRIM_400000_NS6detail17trampoline_kernelINS0_14default_configENS1_22reduce_config_selectorIfEEZNS1_11reduce_implILb1ES3_N6thrust23THRUST_200600_302600_NS11hip_rocprim26transform_input_iterator_tIfNS8_17counting_iteratorIiNS8_11use_defaultESC_SC_EE11estimate_piEEPffNS8_4plusIfEEEE10hipError_tPvRmT1_T2_T3_mT4_P12ihipStream_tbEUlT_E0_NS1_11comp_targetILNS1_3genE5ELNS1_11target_archE942ELNS1_3gpuE9ELNS1_3repE0EEENS1_30default_config_static_selectorELNS0_4arch9wavefront6targetE1EEEvSM_,"axG",@progbits,_ZN7rocprim17ROCPRIM_400000_NS6detail17trampoline_kernelINS0_14default_configENS1_22reduce_config_selectorIfEEZNS1_11reduce_implILb1ES3_N6thrust23THRUST_200600_302600_NS11hip_rocprim26transform_input_iterator_tIfNS8_17counting_iteratorIiNS8_11use_defaultESC_SC_EE11estimate_piEEPffNS8_4plusIfEEEE10hipError_tPvRmT1_T2_T3_mT4_P12ihipStream_tbEUlT_E0_NS1_11comp_targetILNS1_3genE5ELNS1_11target_archE942ELNS1_3gpuE9ELNS1_3repE0EEENS1_30default_config_static_selectorELNS0_4arch9wavefront6targetE1EEEvSM_,comdat
	.protected	_ZN7rocprim17ROCPRIM_400000_NS6detail17trampoline_kernelINS0_14default_configENS1_22reduce_config_selectorIfEEZNS1_11reduce_implILb1ES3_N6thrust23THRUST_200600_302600_NS11hip_rocprim26transform_input_iterator_tIfNS8_17counting_iteratorIiNS8_11use_defaultESC_SC_EE11estimate_piEEPffNS8_4plusIfEEEE10hipError_tPvRmT1_T2_T3_mT4_P12ihipStream_tbEUlT_E0_NS1_11comp_targetILNS1_3genE5ELNS1_11target_archE942ELNS1_3gpuE9ELNS1_3repE0EEENS1_30default_config_static_selectorELNS0_4arch9wavefront6targetE1EEEvSM_ ; -- Begin function _ZN7rocprim17ROCPRIM_400000_NS6detail17trampoline_kernelINS0_14default_configENS1_22reduce_config_selectorIfEEZNS1_11reduce_implILb1ES3_N6thrust23THRUST_200600_302600_NS11hip_rocprim26transform_input_iterator_tIfNS8_17counting_iteratorIiNS8_11use_defaultESC_SC_EE11estimate_piEEPffNS8_4plusIfEEEE10hipError_tPvRmT1_T2_T3_mT4_P12ihipStream_tbEUlT_E0_NS1_11comp_targetILNS1_3genE5ELNS1_11target_archE942ELNS1_3gpuE9ELNS1_3repE0EEENS1_30default_config_static_selectorELNS0_4arch9wavefront6targetE1EEEvSM_
	.globl	_ZN7rocprim17ROCPRIM_400000_NS6detail17trampoline_kernelINS0_14default_configENS1_22reduce_config_selectorIfEEZNS1_11reduce_implILb1ES3_N6thrust23THRUST_200600_302600_NS11hip_rocprim26transform_input_iterator_tIfNS8_17counting_iteratorIiNS8_11use_defaultESC_SC_EE11estimate_piEEPffNS8_4plusIfEEEE10hipError_tPvRmT1_T2_T3_mT4_P12ihipStream_tbEUlT_E0_NS1_11comp_targetILNS1_3genE5ELNS1_11target_archE942ELNS1_3gpuE9ELNS1_3repE0EEENS1_30default_config_static_selectorELNS0_4arch9wavefront6targetE1EEEvSM_
	.p2align	8
	.type	_ZN7rocprim17ROCPRIM_400000_NS6detail17trampoline_kernelINS0_14default_configENS1_22reduce_config_selectorIfEEZNS1_11reduce_implILb1ES3_N6thrust23THRUST_200600_302600_NS11hip_rocprim26transform_input_iterator_tIfNS8_17counting_iteratorIiNS8_11use_defaultESC_SC_EE11estimate_piEEPffNS8_4plusIfEEEE10hipError_tPvRmT1_T2_T3_mT4_P12ihipStream_tbEUlT_E0_NS1_11comp_targetILNS1_3genE5ELNS1_11target_archE942ELNS1_3gpuE9ELNS1_3repE0EEENS1_30default_config_static_selectorELNS0_4arch9wavefront6targetE1EEEvSM_,@function
_ZN7rocprim17ROCPRIM_400000_NS6detail17trampoline_kernelINS0_14default_configENS1_22reduce_config_selectorIfEEZNS1_11reduce_implILb1ES3_N6thrust23THRUST_200600_302600_NS11hip_rocprim26transform_input_iterator_tIfNS8_17counting_iteratorIiNS8_11use_defaultESC_SC_EE11estimate_piEEPffNS8_4plusIfEEEE10hipError_tPvRmT1_T2_T3_mT4_P12ihipStream_tbEUlT_E0_NS1_11comp_targetILNS1_3genE5ELNS1_11target_archE942ELNS1_3gpuE9ELNS1_3repE0EEENS1_30default_config_static_selectorELNS0_4arch9wavefront6targetE1EEEvSM_: ; @_ZN7rocprim17ROCPRIM_400000_NS6detail17trampoline_kernelINS0_14default_configENS1_22reduce_config_selectorIfEEZNS1_11reduce_implILb1ES3_N6thrust23THRUST_200600_302600_NS11hip_rocprim26transform_input_iterator_tIfNS8_17counting_iteratorIiNS8_11use_defaultESC_SC_EE11estimate_piEEPffNS8_4plusIfEEEE10hipError_tPvRmT1_T2_T3_mT4_P12ihipStream_tbEUlT_E0_NS1_11comp_targetILNS1_3genE5ELNS1_11target_archE942ELNS1_3gpuE9ELNS1_3repE0EEENS1_30default_config_static_selectorELNS0_4arch9wavefront6targetE1EEEvSM_
; %bb.0:
	.section	.rodata,"a",@progbits
	.p2align	6, 0x0
	.amdhsa_kernel _ZN7rocprim17ROCPRIM_400000_NS6detail17trampoline_kernelINS0_14default_configENS1_22reduce_config_selectorIfEEZNS1_11reduce_implILb1ES3_N6thrust23THRUST_200600_302600_NS11hip_rocprim26transform_input_iterator_tIfNS8_17counting_iteratorIiNS8_11use_defaultESC_SC_EE11estimate_piEEPffNS8_4plusIfEEEE10hipError_tPvRmT1_T2_T3_mT4_P12ihipStream_tbEUlT_E0_NS1_11comp_targetILNS1_3genE5ELNS1_11target_archE942ELNS1_3gpuE9ELNS1_3repE0EEENS1_30default_config_static_selectorELNS0_4arch9wavefront6targetE1EEEvSM_
		.amdhsa_group_segment_fixed_size 0
		.amdhsa_private_segment_fixed_size 0
		.amdhsa_kernarg_size 56
		.amdhsa_user_sgpr_count 6
		.amdhsa_user_sgpr_private_segment_buffer 1
		.amdhsa_user_sgpr_dispatch_ptr 0
		.amdhsa_user_sgpr_queue_ptr 0
		.amdhsa_user_sgpr_kernarg_segment_ptr 1
		.amdhsa_user_sgpr_dispatch_id 0
		.amdhsa_user_sgpr_flat_scratch_init 0
		.amdhsa_user_sgpr_private_segment_size 0
		.amdhsa_uses_dynamic_stack 0
		.amdhsa_system_sgpr_private_segment_wavefront_offset 0
		.amdhsa_system_sgpr_workgroup_id_x 1
		.amdhsa_system_sgpr_workgroup_id_y 0
		.amdhsa_system_sgpr_workgroup_id_z 0
		.amdhsa_system_sgpr_workgroup_info 0
		.amdhsa_system_vgpr_workitem_id 0
		.amdhsa_next_free_vgpr 1
		.amdhsa_next_free_sgpr 0
		.amdhsa_reserve_vcc 0
		.amdhsa_reserve_flat_scratch 0
		.amdhsa_float_round_mode_32 0
		.amdhsa_float_round_mode_16_64 0
		.amdhsa_float_denorm_mode_32 3
		.amdhsa_float_denorm_mode_16_64 3
		.amdhsa_dx10_clamp 1
		.amdhsa_ieee_mode 1
		.amdhsa_fp16_overflow 0
		.amdhsa_exception_fp_ieee_invalid_op 0
		.amdhsa_exception_fp_denorm_src 0
		.amdhsa_exception_fp_ieee_div_zero 0
		.amdhsa_exception_fp_ieee_overflow 0
		.amdhsa_exception_fp_ieee_underflow 0
		.amdhsa_exception_fp_ieee_inexact 0
		.amdhsa_exception_int_div_zero 0
	.end_amdhsa_kernel
	.section	.text._ZN7rocprim17ROCPRIM_400000_NS6detail17trampoline_kernelINS0_14default_configENS1_22reduce_config_selectorIfEEZNS1_11reduce_implILb1ES3_N6thrust23THRUST_200600_302600_NS11hip_rocprim26transform_input_iterator_tIfNS8_17counting_iteratorIiNS8_11use_defaultESC_SC_EE11estimate_piEEPffNS8_4plusIfEEEE10hipError_tPvRmT1_T2_T3_mT4_P12ihipStream_tbEUlT_E0_NS1_11comp_targetILNS1_3genE5ELNS1_11target_archE942ELNS1_3gpuE9ELNS1_3repE0EEENS1_30default_config_static_selectorELNS0_4arch9wavefront6targetE1EEEvSM_,"axG",@progbits,_ZN7rocprim17ROCPRIM_400000_NS6detail17trampoline_kernelINS0_14default_configENS1_22reduce_config_selectorIfEEZNS1_11reduce_implILb1ES3_N6thrust23THRUST_200600_302600_NS11hip_rocprim26transform_input_iterator_tIfNS8_17counting_iteratorIiNS8_11use_defaultESC_SC_EE11estimate_piEEPffNS8_4plusIfEEEE10hipError_tPvRmT1_T2_T3_mT4_P12ihipStream_tbEUlT_E0_NS1_11comp_targetILNS1_3genE5ELNS1_11target_archE942ELNS1_3gpuE9ELNS1_3repE0EEENS1_30default_config_static_selectorELNS0_4arch9wavefront6targetE1EEEvSM_,comdat
.Lfunc_end19:
	.size	_ZN7rocprim17ROCPRIM_400000_NS6detail17trampoline_kernelINS0_14default_configENS1_22reduce_config_selectorIfEEZNS1_11reduce_implILb1ES3_N6thrust23THRUST_200600_302600_NS11hip_rocprim26transform_input_iterator_tIfNS8_17counting_iteratorIiNS8_11use_defaultESC_SC_EE11estimate_piEEPffNS8_4plusIfEEEE10hipError_tPvRmT1_T2_T3_mT4_P12ihipStream_tbEUlT_E0_NS1_11comp_targetILNS1_3genE5ELNS1_11target_archE942ELNS1_3gpuE9ELNS1_3repE0EEENS1_30default_config_static_selectorELNS0_4arch9wavefront6targetE1EEEvSM_, .Lfunc_end19-_ZN7rocprim17ROCPRIM_400000_NS6detail17trampoline_kernelINS0_14default_configENS1_22reduce_config_selectorIfEEZNS1_11reduce_implILb1ES3_N6thrust23THRUST_200600_302600_NS11hip_rocprim26transform_input_iterator_tIfNS8_17counting_iteratorIiNS8_11use_defaultESC_SC_EE11estimate_piEEPffNS8_4plusIfEEEE10hipError_tPvRmT1_T2_T3_mT4_P12ihipStream_tbEUlT_E0_NS1_11comp_targetILNS1_3genE5ELNS1_11target_archE942ELNS1_3gpuE9ELNS1_3repE0EEENS1_30default_config_static_selectorELNS0_4arch9wavefront6targetE1EEEvSM_
                                        ; -- End function
	.set _ZN7rocprim17ROCPRIM_400000_NS6detail17trampoline_kernelINS0_14default_configENS1_22reduce_config_selectorIfEEZNS1_11reduce_implILb1ES3_N6thrust23THRUST_200600_302600_NS11hip_rocprim26transform_input_iterator_tIfNS8_17counting_iteratorIiNS8_11use_defaultESC_SC_EE11estimate_piEEPffNS8_4plusIfEEEE10hipError_tPvRmT1_T2_T3_mT4_P12ihipStream_tbEUlT_E0_NS1_11comp_targetILNS1_3genE5ELNS1_11target_archE942ELNS1_3gpuE9ELNS1_3repE0EEENS1_30default_config_static_selectorELNS0_4arch9wavefront6targetE1EEEvSM_.num_vgpr, 0
	.set _ZN7rocprim17ROCPRIM_400000_NS6detail17trampoline_kernelINS0_14default_configENS1_22reduce_config_selectorIfEEZNS1_11reduce_implILb1ES3_N6thrust23THRUST_200600_302600_NS11hip_rocprim26transform_input_iterator_tIfNS8_17counting_iteratorIiNS8_11use_defaultESC_SC_EE11estimate_piEEPffNS8_4plusIfEEEE10hipError_tPvRmT1_T2_T3_mT4_P12ihipStream_tbEUlT_E0_NS1_11comp_targetILNS1_3genE5ELNS1_11target_archE942ELNS1_3gpuE9ELNS1_3repE0EEENS1_30default_config_static_selectorELNS0_4arch9wavefront6targetE1EEEvSM_.num_agpr, 0
	.set _ZN7rocprim17ROCPRIM_400000_NS6detail17trampoline_kernelINS0_14default_configENS1_22reduce_config_selectorIfEEZNS1_11reduce_implILb1ES3_N6thrust23THRUST_200600_302600_NS11hip_rocprim26transform_input_iterator_tIfNS8_17counting_iteratorIiNS8_11use_defaultESC_SC_EE11estimate_piEEPffNS8_4plusIfEEEE10hipError_tPvRmT1_T2_T3_mT4_P12ihipStream_tbEUlT_E0_NS1_11comp_targetILNS1_3genE5ELNS1_11target_archE942ELNS1_3gpuE9ELNS1_3repE0EEENS1_30default_config_static_selectorELNS0_4arch9wavefront6targetE1EEEvSM_.numbered_sgpr, 0
	.set _ZN7rocprim17ROCPRIM_400000_NS6detail17trampoline_kernelINS0_14default_configENS1_22reduce_config_selectorIfEEZNS1_11reduce_implILb1ES3_N6thrust23THRUST_200600_302600_NS11hip_rocprim26transform_input_iterator_tIfNS8_17counting_iteratorIiNS8_11use_defaultESC_SC_EE11estimate_piEEPffNS8_4plusIfEEEE10hipError_tPvRmT1_T2_T3_mT4_P12ihipStream_tbEUlT_E0_NS1_11comp_targetILNS1_3genE5ELNS1_11target_archE942ELNS1_3gpuE9ELNS1_3repE0EEENS1_30default_config_static_selectorELNS0_4arch9wavefront6targetE1EEEvSM_.num_named_barrier, 0
	.set _ZN7rocprim17ROCPRIM_400000_NS6detail17trampoline_kernelINS0_14default_configENS1_22reduce_config_selectorIfEEZNS1_11reduce_implILb1ES3_N6thrust23THRUST_200600_302600_NS11hip_rocprim26transform_input_iterator_tIfNS8_17counting_iteratorIiNS8_11use_defaultESC_SC_EE11estimate_piEEPffNS8_4plusIfEEEE10hipError_tPvRmT1_T2_T3_mT4_P12ihipStream_tbEUlT_E0_NS1_11comp_targetILNS1_3genE5ELNS1_11target_archE942ELNS1_3gpuE9ELNS1_3repE0EEENS1_30default_config_static_selectorELNS0_4arch9wavefront6targetE1EEEvSM_.private_seg_size, 0
	.set _ZN7rocprim17ROCPRIM_400000_NS6detail17trampoline_kernelINS0_14default_configENS1_22reduce_config_selectorIfEEZNS1_11reduce_implILb1ES3_N6thrust23THRUST_200600_302600_NS11hip_rocprim26transform_input_iterator_tIfNS8_17counting_iteratorIiNS8_11use_defaultESC_SC_EE11estimate_piEEPffNS8_4plusIfEEEE10hipError_tPvRmT1_T2_T3_mT4_P12ihipStream_tbEUlT_E0_NS1_11comp_targetILNS1_3genE5ELNS1_11target_archE942ELNS1_3gpuE9ELNS1_3repE0EEENS1_30default_config_static_selectorELNS0_4arch9wavefront6targetE1EEEvSM_.uses_vcc, 0
	.set _ZN7rocprim17ROCPRIM_400000_NS6detail17trampoline_kernelINS0_14default_configENS1_22reduce_config_selectorIfEEZNS1_11reduce_implILb1ES3_N6thrust23THRUST_200600_302600_NS11hip_rocprim26transform_input_iterator_tIfNS8_17counting_iteratorIiNS8_11use_defaultESC_SC_EE11estimate_piEEPffNS8_4plusIfEEEE10hipError_tPvRmT1_T2_T3_mT4_P12ihipStream_tbEUlT_E0_NS1_11comp_targetILNS1_3genE5ELNS1_11target_archE942ELNS1_3gpuE9ELNS1_3repE0EEENS1_30default_config_static_selectorELNS0_4arch9wavefront6targetE1EEEvSM_.uses_flat_scratch, 0
	.set _ZN7rocprim17ROCPRIM_400000_NS6detail17trampoline_kernelINS0_14default_configENS1_22reduce_config_selectorIfEEZNS1_11reduce_implILb1ES3_N6thrust23THRUST_200600_302600_NS11hip_rocprim26transform_input_iterator_tIfNS8_17counting_iteratorIiNS8_11use_defaultESC_SC_EE11estimate_piEEPffNS8_4plusIfEEEE10hipError_tPvRmT1_T2_T3_mT4_P12ihipStream_tbEUlT_E0_NS1_11comp_targetILNS1_3genE5ELNS1_11target_archE942ELNS1_3gpuE9ELNS1_3repE0EEENS1_30default_config_static_selectorELNS0_4arch9wavefront6targetE1EEEvSM_.has_dyn_sized_stack, 0
	.set _ZN7rocprim17ROCPRIM_400000_NS6detail17trampoline_kernelINS0_14default_configENS1_22reduce_config_selectorIfEEZNS1_11reduce_implILb1ES3_N6thrust23THRUST_200600_302600_NS11hip_rocprim26transform_input_iterator_tIfNS8_17counting_iteratorIiNS8_11use_defaultESC_SC_EE11estimate_piEEPffNS8_4plusIfEEEE10hipError_tPvRmT1_T2_T3_mT4_P12ihipStream_tbEUlT_E0_NS1_11comp_targetILNS1_3genE5ELNS1_11target_archE942ELNS1_3gpuE9ELNS1_3repE0EEENS1_30default_config_static_selectorELNS0_4arch9wavefront6targetE1EEEvSM_.has_recursion, 0
	.set _ZN7rocprim17ROCPRIM_400000_NS6detail17trampoline_kernelINS0_14default_configENS1_22reduce_config_selectorIfEEZNS1_11reduce_implILb1ES3_N6thrust23THRUST_200600_302600_NS11hip_rocprim26transform_input_iterator_tIfNS8_17counting_iteratorIiNS8_11use_defaultESC_SC_EE11estimate_piEEPffNS8_4plusIfEEEE10hipError_tPvRmT1_T2_T3_mT4_P12ihipStream_tbEUlT_E0_NS1_11comp_targetILNS1_3genE5ELNS1_11target_archE942ELNS1_3gpuE9ELNS1_3repE0EEENS1_30default_config_static_selectorELNS0_4arch9wavefront6targetE1EEEvSM_.has_indirect_call, 0
	.section	.AMDGPU.csdata,"",@progbits
; Kernel info:
; codeLenInByte = 0
; TotalNumSgprs: 4
; NumVgprs: 0
; ScratchSize: 0
; MemoryBound: 0
; FloatMode: 240
; IeeeMode: 1
; LDSByteSize: 0 bytes/workgroup (compile time only)
; SGPRBlocks: 0
; VGPRBlocks: 0
; NumSGPRsForWavesPerEU: 4
; NumVGPRsForWavesPerEU: 1
; Occupancy: 10
; WaveLimiterHint : 0
; COMPUTE_PGM_RSRC2:SCRATCH_EN: 0
; COMPUTE_PGM_RSRC2:USER_SGPR: 6
; COMPUTE_PGM_RSRC2:TRAP_HANDLER: 0
; COMPUTE_PGM_RSRC2:TGID_X_EN: 1
; COMPUTE_PGM_RSRC2:TGID_Y_EN: 0
; COMPUTE_PGM_RSRC2:TGID_Z_EN: 0
; COMPUTE_PGM_RSRC2:TIDIG_COMP_CNT: 0
	.section	.text._ZN7rocprim17ROCPRIM_400000_NS6detail17trampoline_kernelINS0_14default_configENS1_22reduce_config_selectorIfEEZNS1_11reduce_implILb1ES3_N6thrust23THRUST_200600_302600_NS11hip_rocprim26transform_input_iterator_tIfNS8_17counting_iteratorIiNS8_11use_defaultESC_SC_EE11estimate_piEEPffNS8_4plusIfEEEE10hipError_tPvRmT1_T2_T3_mT4_P12ihipStream_tbEUlT_E0_NS1_11comp_targetILNS1_3genE4ELNS1_11target_archE910ELNS1_3gpuE8ELNS1_3repE0EEENS1_30default_config_static_selectorELNS0_4arch9wavefront6targetE1EEEvSM_,"axG",@progbits,_ZN7rocprim17ROCPRIM_400000_NS6detail17trampoline_kernelINS0_14default_configENS1_22reduce_config_selectorIfEEZNS1_11reduce_implILb1ES3_N6thrust23THRUST_200600_302600_NS11hip_rocprim26transform_input_iterator_tIfNS8_17counting_iteratorIiNS8_11use_defaultESC_SC_EE11estimate_piEEPffNS8_4plusIfEEEE10hipError_tPvRmT1_T2_T3_mT4_P12ihipStream_tbEUlT_E0_NS1_11comp_targetILNS1_3genE4ELNS1_11target_archE910ELNS1_3gpuE8ELNS1_3repE0EEENS1_30default_config_static_selectorELNS0_4arch9wavefront6targetE1EEEvSM_,comdat
	.protected	_ZN7rocprim17ROCPRIM_400000_NS6detail17trampoline_kernelINS0_14default_configENS1_22reduce_config_selectorIfEEZNS1_11reduce_implILb1ES3_N6thrust23THRUST_200600_302600_NS11hip_rocprim26transform_input_iterator_tIfNS8_17counting_iteratorIiNS8_11use_defaultESC_SC_EE11estimate_piEEPffNS8_4plusIfEEEE10hipError_tPvRmT1_T2_T3_mT4_P12ihipStream_tbEUlT_E0_NS1_11comp_targetILNS1_3genE4ELNS1_11target_archE910ELNS1_3gpuE8ELNS1_3repE0EEENS1_30default_config_static_selectorELNS0_4arch9wavefront6targetE1EEEvSM_ ; -- Begin function _ZN7rocprim17ROCPRIM_400000_NS6detail17trampoline_kernelINS0_14default_configENS1_22reduce_config_selectorIfEEZNS1_11reduce_implILb1ES3_N6thrust23THRUST_200600_302600_NS11hip_rocprim26transform_input_iterator_tIfNS8_17counting_iteratorIiNS8_11use_defaultESC_SC_EE11estimate_piEEPffNS8_4plusIfEEEE10hipError_tPvRmT1_T2_T3_mT4_P12ihipStream_tbEUlT_E0_NS1_11comp_targetILNS1_3genE4ELNS1_11target_archE910ELNS1_3gpuE8ELNS1_3repE0EEENS1_30default_config_static_selectorELNS0_4arch9wavefront6targetE1EEEvSM_
	.globl	_ZN7rocprim17ROCPRIM_400000_NS6detail17trampoline_kernelINS0_14default_configENS1_22reduce_config_selectorIfEEZNS1_11reduce_implILb1ES3_N6thrust23THRUST_200600_302600_NS11hip_rocprim26transform_input_iterator_tIfNS8_17counting_iteratorIiNS8_11use_defaultESC_SC_EE11estimate_piEEPffNS8_4plusIfEEEE10hipError_tPvRmT1_T2_T3_mT4_P12ihipStream_tbEUlT_E0_NS1_11comp_targetILNS1_3genE4ELNS1_11target_archE910ELNS1_3gpuE8ELNS1_3repE0EEENS1_30default_config_static_selectorELNS0_4arch9wavefront6targetE1EEEvSM_
	.p2align	8
	.type	_ZN7rocprim17ROCPRIM_400000_NS6detail17trampoline_kernelINS0_14default_configENS1_22reduce_config_selectorIfEEZNS1_11reduce_implILb1ES3_N6thrust23THRUST_200600_302600_NS11hip_rocprim26transform_input_iterator_tIfNS8_17counting_iteratorIiNS8_11use_defaultESC_SC_EE11estimate_piEEPffNS8_4plusIfEEEE10hipError_tPvRmT1_T2_T3_mT4_P12ihipStream_tbEUlT_E0_NS1_11comp_targetILNS1_3genE4ELNS1_11target_archE910ELNS1_3gpuE8ELNS1_3repE0EEENS1_30default_config_static_selectorELNS0_4arch9wavefront6targetE1EEEvSM_,@function
_ZN7rocprim17ROCPRIM_400000_NS6detail17trampoline_kernelINS0_14default_configENS1_22reduce_config_selectorIfEEZNS1_11reduce_implILb1ES3_N6thrust23THRUST_200600_302600_NS11hip_rocprim26transform_input_iterator_tIfNS8_17counting_iteratorIiNS8_11use_defaultESC_SC_EE11estimate_piEEPffNS8_4plusIfEEEE10hipError_tPvRmT1_T2_T3_mT4_P12ihipStream_tbEUlT_E0_NS1_11comp_targetILNS1_3genE4ELNS1_11target_archE910ELNS1_3gpuE8ELNS1_3repE0EEENS1_30default_config_static_selectorELNS0_4arch9wavefront6targetE1EEEvSM_: ; @_ZN7rocprim17ROCPRIM_400000_NS6detail17trampoline_kernelINS0_14default_configENS1_22reduce_config_selectorIfEEZNS1_11reduce_implILb1ES3_N6thrust23THRUST_200600_302600_NS11hip_rocprim26transform_input_iterator_tIfNS8_17counting_iteratorIiNS8_11use_defaultESC_SC_EE11estimate_piEEPffNS8_4plusIfEEEE10hipError_tPvRmT1_T2_T3_mT4_P12ihipStream_tbEUlT_E0_NS1_11comp_targetILNS1_3genE4ELNS1_11target_archE910ELNS1_3gpuE8ELNS1_3repE0EEENS1_30default_config_static_selectorELNS0_4arch9wavefront6targetE1EEEvSM_
; %bb.0:
	.section	.rodata,"a",@progbits
	.p2align	6, 0x0
	.amdhsa_kernel _ZN7rocprim17ROCPRIM_400000_NS6detail17trampoline_kernelINS0_14default_configENS1_22reduce_config_selectorIfEEZNS1_11reduce_implILb1ES3_N6thrust23THRUST_200600_302600_NS11hip_rocprim26transform_input_iterator_tIfNS8_17counting_iteratorIiNS8_11use_defaultESC_SC_EE11estimate_piEEPffNS8_4plusIfEEEE10hipError_tPvRmT1_T2_T3_mT4_P12ihipStream_tbEUlT_E0_NS1_11comp_targetILNS1_3genE4ELNS1_11target_archE910ELNS1_3gpuE8ELNS1_3repE0EEENS1_30default_config_static_selectorELNS0_4arch9wavefront6targetE1EEEvSM_
		.amdhsa_group_segment_fixed_size 0
		.amdhsa_private_segment_fixed_size 0
		.amdhsa_kernarg_size 56
		.amdhsa_user_sgpr_count 6
		.amdhsa_user_sgpr_private_segment_buffer 1
		.amdhsa_user_sgpr_dispatch_ptr 0
		.amdhsa_user_sgpr_queue_ptr 0
		.amdhsa_user_sgpr_kernarg_segment_ptr 1
		.amdhsa_user_sgpr_dispatch_id 0
		.amdhsa_user_sgpr_flat_scratch_init 0
		.amdhsa_user_sgpr_private_segment_size 0
		.amdhsa_uses_dynamic_stack 0
		.amdhsa_system_sgpr_private_segment_wavefront_offset 0
		.amdhsa_system_sgpr_workgroup_id_x 1
		.amdhsa_system_sgpr_workgroup_id_y 0
		.amdhsa_system_sgpr_workgroup_id_z 0
		.amdhsa_system_sgpr_workgroup_info 0
		.amdhsa_system_vgpr_workitem_id 0
		.amdhsa_next_free_vgpr 1
		.amdhsa_next_free_sgpr 0
		.amdhsa_reserve_vcc 0
		.amdhsa_reserve_flat_scratch 0
		.amdhsa_float_round_mode_32 0
		.amdhsa_float_round_mode_16_64 0
		.amdhsa_float_denorm_mode_32 3
		.amdhsa_float_denorm_mode_16_64 3
		.amdhsa_dx10_clamp 1
		.amdhsa_ieee_mode 1
		.amdhsa_fp16_overflow 0
		.amdhsa_exception_fp_ieee_invalid_op 0
		.amdhsa_exception_fp_denorm_src 0
		.amdhsa_exception_fp_ieee_div_zero 0
		.amdhsa_exception_fp_ieee_overflow 0
		.amdhsa_exception_fp_ieee_underflow 0
		.amdhsa_exception_fp_ieee_inexact 0
		.amdhsa_exception_int_div_zero 0
	.end_amdhsa_kernel
	.section	.text._ZN7rocprim17ROCPRIM_400000_NS6detail17trampoline_kernelINS0_14default_configENS1_22reduce_config_selectorIfEEZNS1_11reduce_implILb1ES3_N6thrust23THRUST_200600_302600_NS11hip_rocprim26transform_input_iterator_tIfNS8_17counting_iteratorIiNS8_11use_defaultESC_SC_EE11estimate_piEEPffNS8_4plusIfEEEE10hipError_tPvRmT1_T2_T3_mT4_P12ihipStream_tbEUlT_E0_NS1_11comp_targetILNS1_3genE4ELNS1_11target_archE910ELNS1_3gpuE8ELNS1_3repE0EEENS1_30default_config_static_selectorELNS0_4arch9wavefront6targetE1EEEvSM_,"axG",@progbits,_ZN7rocprim17ROCPRIM_400000_NS6detail17trampoline_kernelINS0_14default_configENS1_22reduce_config_selectorIfEEZNS1_11reduce_implILb1ES3_N6thrust23THRUST_200600_302600_NS11hip_rocprim26transform_input_iterator_tIfNS8_17counting_iteratorIiNS8_11use_defaultESC_SC_EE11estimate_piEEPffNS8_4plusIfEEEE10hipError_tPvRmT1_T2_T3_mT4_P12ihipStream_tbEUlT_E0_NS1_11comp_targetILNS1_3genE4ELNS1_11target_archE910ELNS1_3gpuE8ELNS1_3repE0EEENS1_30default_config_static_selectorELNS0_4arch9wavefront6targetE1EEEvSM_,comdat
.Lfunc_end20:
	.size	_ZN7rocprim17ROCPRIM_400000_NS6detail17trampoline_kernelINS0_14default_configENS1_22reduce_config_selectorIfEEZNS1_11reduce_implILb1ES3_N6thrust23THRUST_200600_302600_NS11hip_rocprim26transform_input_iterator_tIfNS8_17counting_iteratorIiNS8_11use_defaultESC_SC_EE11estimate_piEEPffNS8_4plusIfEEEE10hipError_tPvRmT1_T2_T3_mT4_P12ihipStream_tbEUlT_E0_NS1_11comp_targetILNS1_3genE4ELNS1_11target_archE910ELNS1_3gpuE8ELNS1_3repE0EEENS1_30default_config_static_selectorELNS0_4arch9wavefront6targetE1EEEvSM_, .Lfunc_end20-_ZN7rocprim17ROCPRIM_400000_NS6detail17trampoline_kernelINS0_14default_configENS1_22reduce_config_selectorIfEEZNS1_11reduce_implILb1ES3_N6thrust23THRUST_200600_302600_NS11hip_rocprim26transform_input_iterator_tIfNS8_17counting_iteratorIiNS8_11use_defaultESC_SC_EE11estimate_piEEPffNS8_4plusIfEEEE10hipError_tPvRmT1_T2_T3_mT4_P12ihipStream_tbEUlT_E0_NS1_11comp_targetILNS1_3genE4ELNS1_11target_archE910ELNS1_3gpuE8ELNS1_3repE0EEENS1_30default_config_static_selectorELNS0_4arch9wavefront6targetE1EEEvSM_
                                        ; -- End function
	.set _ZN7rocprim17ROCPRIM_400000_NS6detail17trampoline_kernelINS0_14default_configENS1_22reduce_config_selectorIfEEZNS1_11reduce_implILb1ES3_N6thrust23THRUST_200600_302600_NS11hip_rocprim26transform_input_iterator_tIfNS8_17counting_iteratorIiNS8_11use_defaultESC_SC_EE11estimate_piEEPffNS8_4plusIfEEEE10hipError_tPvRmT1_T2_T3_mT4_P12ihipStream_tbEUlT_E0_NS1_11comp_targetILNS1_3genE4ELNS1_11target_archE910ELNS1_3gpuE8ELNS1_3repE0EEENS1_30default_config_static_selectorELNS0_4arch9wavefront6targetE1EEEvSM_.num_vgpr, 0
	.set _ZN7rocprim17ROCPRIM_400000_NS6detail17trampoline_kernelINS0_14default_configENS1_22reduce_config_selectorIfEEZNS1_11reduce_implILb1ES3_N6thrust23THRUST_200600_302600_NS11hip_rocprim26transform_input_iterator_tIfNS8_17counting_iteratorIiNS8_11use_defaultESC_SC_EE11estimate_piEEPffNS8_4plusIfEEEE10hipError_tPvRmT1_T2_T3_mT4_P12ihipStream_tbEUlT_E0_NS1_11comp_targetILNS1_3genE4ELNS1_11target_archE910ELNS1_3gpuE8ELNS1_3repE0EEENS1_30default_config_static_selectorELNS0_4arch9wavefront6targetE1EEEvSM_.num_agpr, 0
	.set _ZN7rocprim17ROCPRIM_400000_NS6detail17trampoline_kernelINS0_14default_configENS1_22reduce_config_selectorIfEEZNS1_11reduce_implILb1ES3_N6thrust23THRUST_200600_302600_NS11hip_rocprim26transform_input_iterator_tIfNS8_17counting_iteratorIiNS8_11use_defaultESC_SC_EE11estimate_piEEPffNS8_4plusIfEEEE10hipError_tPvRmT1_T2_T3_mT4_P12ihipStream_tbEUlT_E0_NS1_11comp_targetILNS1_3genE4ELNS1_11target_archE910ELNS1_3gpuE8ELNS1_3repE0EEENS1_30default_config_static_selectorELNS0_4arch9wavefront6targetE1EEEvSM_.numbered_sgpr, 0
	.set _ZN7rocprim17ROCPRIM_400000_NS6detail17trampoline_kernelINS0_14default_configENS1_22reduce_config_selectorIfEEZNS1_11reduce_implILb1ES3_N6thrust23THRUST_200600_302600_NS11hip_rocprim26transform_input_iterator_tIfNS8_17counting_iteratorIiNS8_11use_defaultESC_SC_EE11estimate_piEEPffNS8_4plusIfEEEE10hipError_tPvRmT1_T2_T3_mT4_P12ihipStream_tbEUlT_E0_NS1_11comp_targetILNS1_3genE4ELNS1_11target_archE910ELNS1_3gpuE8ELNS1_3repE0EEENS1_30default_config_static_selectorELNS0_4arch9wavefront6targetE1EEEvSM_.num_named_barrier, 0
	.set _ZN7rocprim17ROCPRIM_400000_NS6detail17trampoline_kernelINS0_14default_configENS1_22reduce_config_selectorIfEEZNS1_11reduce_implILb1ES3_N6thrust23THRUST_200600_302600_NS11hip_rocprim26transform_input_iterator_tIfNS8_17counting_iteratorIiNS8_11use_defaultESC_SC_EE11estimate_piEEPffNS8_4plusIfEEEE10hipError_tPvRmT1_T2_T3_mT4_P12ihipStream_tbEUlT_E0_NS1_11comp_targetILNS1_3genE4ELNS1_11target_archE910ELNS1_3gpuE8ELNS1_3repE0EEENS1_30default_config_static_selectorELNS0_4arch9wavefront6targetE1EEEvSM_.private_seg_size, 0
	.set _ZN7rocprim17ROCPRIM_400000_NS6detail17trampoline_kernelINS0_14default_configENS1_22reduce_config_selectorIfEEZNS1_11reduce_implILb1ES3_N6thrust23THRUST_200600_302600_NS11hip_rocprim26transform_input_iterator_tIfNS8_17counting_iteratorIiNS8_11use_defaultESC_SC_EE11estimate_piEEPffNS8_4plusIfEEEE10hipError_tPvRmT1_T2_T3_mT4_P12ihipStream_tbEUlT_E0_NS1_11comp_targetILNS1_3genE4ELNS1_11target_archE910ELNS1_3gpuE8ELNS1_3repE0EEENS1_30default_config_static_selectorELNS0_4arch9wavefront6targetE1EEEvSM_.uses_vcc, 0
	.set _ZN7rocprim17ROCPRIM_400000_NS6detail17trampoline_kernelINS0_14default_configENS1_22reduce_config_selectorIfEEZNS1_11reduce_implILb1ES3_N6thrust23THRUST_200600_302600_NS11hip_rocprim26transform_input_iterator_tIfNS8_17counting_iteratorIiNS8_11use_defaultESC_SC_EE11estimate_piEEPffNS8_4plusIfEEEE10hipError_tPvRmT1_T2_T3_mT4_P12ihipStream_tbEUlT_E0_NS1_11comp_targetILNS1_3genE4ELNS1_11target_archE910ELNS1_3gpuE8ELNS1_3repE0EEENS1_30default_config_static_selectorELNS0_4arch9wavefront6targetE1EEEvSM_.uses_flat_scratch, 0
	.set _ZN7rocprim17ROCPRIM_400000_NS6detail17trampoline_kernelINS0_14default_configENS1_22reduce_config_selectorIfEEZNS1_11reduce_implILb1ES3_N6thrust23THRUST_200600_302600_NS11hip_rocprim26transform_input_iterator_tIfNS8_17counting_iteratorIiNS8_11use_defaultESC_SC_EE11estimate_piEEPffNS8_4plusIfEEEE10hipError_tPvRmT1_T2_T3_mT4_P12ihipStream_tbEUlT_E0_NS1_11comp_targetILNS1_3genE4ELNS1_11target_archE910ELNS1_3gpuE8ELNS1_3repE0EEENS1_30default_config_static_selectorELNS0_4arch9wavefront6targetE1EEEvSM_.has_dyn_sized_stack, 0
	.set _ZN7rocprim17ROCPRIM_400000_NS6detail17trampoline_kernelINS0_14default_configENS1_22reduce_config_selectorIfEEZNS1_11reduce_implILb1ES3_N6thrust23THRUST_200600_302600_NS11hip_rocprim26transform_input_iterator_tIfNS8_17counting_iteratorIiNS8_11use_defaultESC_SC_EE11estimate_piEEPffNS8_4plusIfEEEE10hipError_tPvRmT1_T2_T3_mT4_P12ihipStream_tbEUlT_E0_NS1_11comp_targetILNS1_3genE4ELNS1_11target_archE910ELNS1_3gpuE8ELNS1_3repE0EEENS1_30default_config_static_selectorELNS0_4arch9wavefront6targetE1EEEvSM_.has_recursion, 0
	.set _ZN7rocprim17ROCPRIM_400000_NS6detail17trampoline_kernelINS0_14default_configENS1_22reduce_config_selectorIfEEZNS1_11reduce_implILb1ES3_N6thrust23THRUST_200600_302600_NS11hip_rocprim26transform_input_iterator_tIfNS8_17counting_iteratorIiNS8_11use_defaultESC_SC_EE11estimate_piEEPffNS8_4plusIfEEEE10hipError_tPvRmT1_T2_T3_mT4_P12ihipStream_tbEUlT_E0_NS1_11comp_targetILNS1_3genE4ELNS1_11target_archE910ELNS1_3gpuE8ELNS1_3repE0EEENS1_30default_config_static_selectorELNS0_4arch9wavefront6targetE1EEEvSM_.has_indirect_call, 0
	.section	.AMDGPU.csdata,"",@progbits
; Kernel info:
; codeLenInByte = 0
; TotalNumSgprs: 4
; NumVgprs: 0
; ScratchSize: 0
; MemoryBound: 0
; FloatMode: 240
; IeeeMode: 1
; LDSByteSize: 0 bytes/workgroup (compile time only)
; SGPRBlocks: 0
; VGPRBlocks: 0
; NumSGPRsForWavesPerEU: 4
; NumVGPRsForWavesPerEU: 1
; Occupancy: 10
; WaveLimiterHint : 0
; COMPUTE_PGM_RSRC2:SCRATCH_EN: 0
; COMPUTE_PGM_RSRC2:USER_SGPR: 6
; COMPUTE_PGM_RSRC2:TRAP_HANDLER: 0
; COMPUTE_PGM_RSRC2:TGID_X_EN: 1
; COMPUTE_PGM_RSRC2:TGID_Y_EN: 0
; COMPUTE_PGM_RSRC2:TGID_Z_EN: 0
; COMPUTE_PGM_RSRC2:TIDIG_COMP_CNT: 0
	.section	.text._ZN7rocprim17ROCPRIM_400000_NS6detail17trampoline_kernelINS0_14default_configENS1_22reduce_config_selectorIfEEZNS1_11reduce_implILb1ES3_N6thrust23THRUST_200600_302600_NS11hip_rocprim26transform_input_iterator_tIfNS8_17counting_iteratorIiNS8_11use_defaultESC_SC_EE11estimate_piEEPffNS8_4plusIfEEEE10hipError_tPvRmT1_T2_T3_mT4_P12ihipStream_tbEUlT_E0_NS1_11comp_targetILNS1_3genE3ELNS1_11target_archE908ELNS1_3gpuE7ELNS1_3repE0EEENS1_30default_config_static_selectorELNS0_4arch9wavefront6targetE1EEEvSM_,"axG",@progbits,_ZN7rocprim17ROCPRIM_400000_NS6detail17trampoline_kernelINS0_14default_configENS1_22reduce_config_selectorIfEEZNS1_11reduce_implILb1ES3_N6thrust23THRUST_200600_302600_NS11hip_rocprim26transform_input_iterator_tIfNS8_17counting_iteratorIiNS8_11use_defaultESC_SC_EE11estimate_piEEPffNS8_4plusIfEEEE10hipError_tPvRmT1_T2_T3_mT4_P12ihipStream_tbEUlT_E0_NS1_11comp_targetILNS1_3genE3ELNS1_11target_archE908ELNS1_3gpuE7ELNS1_3repE0EEENS1_30default_config_static_selectorELNS0_4arch9wavefront6targetE1EEEvSM_,comdat
	.protected	_ZN7rocprim17ROCPRIM_400000_NS6detail17trampoline_kernelINS0_14default_configENS1_22reduce_config_selectorIfEEZNS1_11reduce_implILb1ES3_N6thrust23THRUST_200600_302600_NS11hip_rocprim26transform_input_iterator_tIfNS8_17counting_iteratorIiNS8_11use_defaultESC_SC_EE11estimate_piEEPffNS8_4plusIfEEEE10hipError_tPvRmT1_T2_T3_mT4_P12ihipStream_tbEUlT_E0_NS1_11comp_targetILNS1_3genE3ELNS1_11target_archE908ELNS1_3gpuE7ELNS1_3repE0EEENS1_30default_config_static_selectorELNS0_4arch9wavefront6targetE1EEEvSM_ ; -- Begin function _ZN7rocprim17ROCPRIM_400000_NS6detail17trampoline_kernelINS0_14default_configENS1_22reduce_config_selectorIfEEZNS1_11reduce_implILb1ES3_N6thrust23THRUST_200600_302600_NS11hip_rocprim26transform_input_iterator_tIfNS8_17counting_iteratorIiNS8_11use_defaultESC_SC_EE11estimate_piEEPffNS8_4plusIfEEEE10hipError_tPvRmT1_T2_T3_mT4_P12ihipStream_tbEUlT_E0_NS1_11comp_targetILNS1_3genE3ELNS1_11target_archE908ELNS1_3gpuE7ELNS1_3repE0EEENS1_30default_config_static_selectorELNS0_4arch9wavefront6targetE1EEEvSM_
	.globl	_ZN7rocprim17ROCPRIM_400000_NS6detail17trampoline_kernelINS0_14default_configENS1_22reduce_config_selectorIfEEZNS1_11reduce_implILb1ES3_N6thrust23THRUST_200600_302600_NS11hip_rocprim26transform_input_iterator_tIfNS8_17counting_iteratorIiNS8_11use_defaultESC_SC_EE11estimate_piEEPffNS8_4plusIfEEEE10hipError_tPvRmT1_T2_T3_mT4_P12ihipStream_tbEUlT_E0_NS1_11comp_targetILNS1_3genE3ELNS1_11target_archE908ELNS1_3gpuE7ELNS1_3repE0EEENS1_30default_config_static_selectorELNS0_4arch9wavefront6targetE1EEEvSM_
	.p2align	8
	.type	_ZN7rocprim17ROCPRIM_400000_NS6detail17trampoline_kernelINS0_14default_configENS1_22reduce_config_selectorIfEEZNS1_11reduce_implILb1ES3_N6thrust23THRUST_200600_302600_NS11hip_rocprim26transform_input_iterator_tIfNS8_17counting_iteratorIiNS8_11use_defaultESC_SC_EE11estimate_piEEPffNS8_4plusIfEEEE10hipError_tPvRmT1_T2_T3_mT4_P12ihipStream_tbEUlT_E0_NS1_11comp_targetILNS1_3genE3ELNS1_11target_archE908ELNS1_3gpuE7ELNS1_3repE0EEENS1_30default_config_static_selectorELNS0_4arch9wavefront6targetE1EEEvSM_,@function
_ZN7rocprim17ROCPRIM_400000_NS6detail17trampoline_kernelINS0_14default_configENS1_22reduce_config_selectorIfEEZNS1_11reduce_implILb1ES3_N6thrust23THRUST_200600_302600_NS11hip_rocprim26transform_input_iterator_tIfNS8_17counting_iteratorIiNS8_11use_defaultESC_SC_EE11estimate_piEEPffNS8_4plusIfEEEE10hipError_tPvRmT1_T2_T3_mT4_P12ihipStream_tbEUlT_E0_NS1_11comp_targetILNS1_3genE3ELNS1_11target_archE908ELNS1_3gpuE7ELNS1_3repE0EEENS1_30default_config_static_selectorELNS0_4arch9wavefront6targetE1EEEvSM_: ; @_ZN7rocprim17ROCPRIM_400000_NS6detail17trampoline_kernelINS0_14default_configENS1_22reduce_config_selectorIfEEZNS1_11reduce_implILb1ES3_N6thrust23THRUST_200600_302600_NS11hip_rocprim26transform_input_iterator_tIfNS8_17counting_iteratorIiNS8_11use_defaultESC_SC_EE11estimate_piEEPffNS8_4plusIfEEEE10hipError_tPvRmT1_T2_T3_mT4_P12ihipStream_tbEUlT_E0_NS1_11comp_targetILNS1_3genE3ELNS1_11target_archE908ELNS1_3gpuE7ELNS1_3repE0EEENS1_30default_config_static_selectorELNS0_4arch9wavefront6targetE1EEEvSM_
; %bb.0:
	.section	.rodata,"a",@progbits
	.p2align	6, 0x0
	.amdhsa_kernel _ZN7rocprim17ROCPRIM_400000_NS6detail17trampoline_kernelINS0_14default_configENS1_22reduce_config_selectorIfEEZNS1_11reduce_implILb1ES3_N6thrust23THRUST_200600_302600_NS11hip_rocprim26transform_input_iterator_tIfNS8_17counting_iteratorIiNS8_11use_defaultESC_SC_EE11estimate_piEEPffNS8_4plusIfEEEE10hipError_tPvRmT1_T2_T3_mT4_P12ihipStream_tbEUlT_E0_NS1_11comp_targetILNS1_3genE3ELNS1_11target_archE908ELNS1_3gpuE7ELNS1_3repE0EEENS1_30default_config_static_selectorELNS0_4arch9wavefront6targetE1EEEvSM_
		.amdhsa_group_segment_fixed_size 0
		.amdhsa_private_segment_fixed_size 0
		.amdhsa_kernarg_size 56
		.amdhsa_user_sgpr_count 6
		.amdhsa_user_sgpr_private_segment_buffer 1
		.amdhsa_user_sgpr_dispatch_ptr 0
		.amdhsa_user_sgpr_queue_ptr 0
		.amdhsa_user_sgpr_kernarg_segment_ptr 1
		.amdhsa_user_sgpr_dispatch_id 0
		.amdhsa_user_sgpr_flat_scratch_init 0
		.amdhsa_user_sgpr_private_segment_size 0
		.amdhsa_uses_dynamic_stack 0
		.amdhsa_system_sgpr_private_segment_wavefront_offset 0
		.amdhsa_system_sgpr_workgroup_id_x 1
		.amdhsa_system_sgpr_workgroup_id_y 0
		.amdhsa_system_sgpr_workgroup_id_z 0
		.amdhsa_system_sgpr_workgroup_info 0
		.amdhsa_system_vgpr_workitem_id 0
		.amdhsa_next_free_vgpr 1
		.amdhsa_next_free_sgpr 0
		.amdhsa_reserve_vcc 0
		.amdhsa_reserve_flat_scratch 0
		.amdhsa_float_round_mode_32 0
		.amdhsa_float_round_mode_16_64 0
		.amdhsa_float_denorm_mode_32 3
		.amdhsa_float_denorm_mode_16_64 3
		.amdhsa_dx10_clamp 1
		.amdhsa_ieee_mode 1
		.amdhsa_fp16_overflow 0
		.amdhsa_exception_fp_ieee_invalid_op 0
		.amdhsa_exception_fp_denorm_src 0
		.amdhsa_exception_fp_ieee_div_zero 0
		.amdhsa_exception_fp_ieee_overflow 0
		.amdhsa_exception_fp_ieee_underflow 0
		.amdhsa_exception_fp_ieee_inexact 0
		.amdhsa_exception_int_div_zero 0
	.end_amdhsa_kernel
	.section	.text._ZN7rocprim17ROCPRIM_400000_NS6detail17trampoline_kernelINS0_14default_configENS1_22reduce_config_selectorIfEEZNS1_11reduce_implILb1ES3_N6thrust23THRUST_200600_302600_NS11hip_rocprim26transform_input_iterator_tIfNS8_17counting_iteratorIiNS8_11use_defaultESC_SC_EE11estimate_piEEPffNS8_4plusIfEEEE10hipError_tPvRmT1_T2_T3_mT4_P12ihipStream_tbEUlT_E0_NS1_11comp_targetILNS1_3genE3ELNS1_11target_archE908ELNS1_3gpuE7ELNS1_3repE0EEENS1_30default_config_static_selectorELNS0_4arch9wavefront6targetE1EEEvSM_,"axG",@progbits,_ZN7rocprim17ROCPRIM_400000_NS6detail17trampoline_kernelINS0_14default_configENS1_22reduce_config_selectorIfEEZNS1_11reduce_implILb1ES3_N6thrust23THRUST_200600_302600_NS11hip_rocprim26transform_input_iterator_tIfNS8_17counting_iteratorIiNS8_11use_defaultESC_SC_EE11estimate_piEEPffNS8_4plusIfEEEE10hipError_tPvRmT1_T2_T3_mT4_P12ihipStream_tbEUlT_E0_NS1_11comp_targetILNS1_3genE3ELNS1_11target_archE908ELNS1_3gpuE7ELNS1_3repE0EEENS1_30default_config_static_selectorELNS0_4arch9wavefront6targetE1EEEvSM_,comdat
.Lfunc_end21:
	.size	_ZN7rocprim17ROCPRIM_400000_NS6detail17trampoline_kernelINS0_14default_configENS1_22reduce_config_selectorIfEEZNS1_11reduce_implILb1ES3_N6thrust23THRUST_200600_302600_NS11hip_rocprim26transform_input_iterator_tIfNS8_17counting_iteratorIiNS8_11use_defaultESC_SC_EE11estimate_piEEPffNS8_4plusIfEEEE10hipError_tPvRmT1_T2_T3_mT4_P12ihipStream_tbEUlT_E0_NS1_11comp_targetILNS1_3genE3ELNS1_11target_archE908ELNS1_3gpuE7ELNS1_3repE0EEENS1_30default_config_static_selectorELNS0_4arch9wavefront6targetE1EEEvSM_, .Lfunc_end21-_ZN7rocprim17ROCPRIM_400000_NS6detail17trampoline_kernelINS0_14default_configENS1_22reduce_config_selectorIfEEZNS1_11reduce_implILb1ES3_N6thrust23THRUST_200600_302600_NS11hip_rocprim26transform_input_iterator_tIfNS8_17counting_iteratorIiNS8_11use_defaultESC_SC_EE11estimate_piEEPffNS8_4plusIfEEEE10hipError_tPvRmT1_T2_T3_mT4_P12ihipStream_tbEUlT_E0_NS1_11comp_targetILNS1_3genE3ELNS1_11target_archE908ELNS1_3gpuE7ELNS1_3repE0EEENS1_30default_config_static_selectorELNS0_4arch9wavefront6targetE1EEEvSM_
                                        ; -- End function
	.set _ZN7rocprim17ROCPRIM_400000_NS6detail17trampoline_kernelINS0_14default_configENS1_22reduce_config_selectorIfEEZNS1_11reduce_implILb1ES3_N6thrust23THRUST_200600_302600_NS11hip_rocprim26transform_input_iterator_tIfNS8_17counting_iteratorIiNS8_11use_defaultESC_SC_EE11estimate_piEEPffNS8_4plusIfEEEE10hipError_tPvRmT1_T2_T3_mT4_P12ihipStream_tbEUlT_E0_NS1_11comp_targetILNS1_3genE3ELNS1_11target_archE908ELNS1_3gpuE7ELNS1_3repE0EEENS1_30default_config_static_selectorELNS0_4arch9wavefront6targetE1EEEvSM_.num_vgpr, 0
	.set _ZN7rocprim17ROCPRIM_400000_NS6detail17trampoline_kernelINS0_14default_configENS1_22reduce_config_selectorIfEEZNS1_11reduce_implILb1ES3_N6thrust23THRUST_200600_302600_NS11hip_rocprim26transform_input_iterator_tIfNS8_17counting_iteratorIiNS8_11use_defaultESC_SC_EE11estimate_piEEPffNS8_4plusIfEEEE10hipError_tPvRmT1_T2_T3_mT4_P12ihipStream_tbEUlT_E0_NS1_11comp_targetILNS1_3genE3ELNS1_11target_archE908ELNS1_3gpuE7ELNS1_3repE0EEENS1_30default_config_static_selectorELNS0_4arch9wavefront6targetE1EEEvSM_.num_agpr, 0
	.set _ZN7rocprim17ROCPRIM_400000_NS6detail17trampoline_kernelINS0_14default_configENS1_22reduce_config_selectorIfEEZNS1_11reduce_implILb1ES3_N6thrust23THRUST_200600_302600_NS11hip_rocprim26transform_input_iterator_tIfNS8_17counting_iteratorIiNS8_11use_defaultESC_SC_EE11estimate_piEEPffNS8_4plusIfEEEE10hipError_tPvRmT1_T2_T3_mT4_P12ihipStream_tbEUlT_E0_NS1_11comp_targetILNS1_3genE3ELNS1_11target_archE908ELNS1_3gpuE7ELNS1_3repE0EEENS1_30default_config_static_selectorELNS0_4arch9wavefront6targetE1EEEvSM_.numbered_sgpr, 0
	.set _ZN7rocprim17ROCPRIM_400000_NS6detail17trampoline_kernelINS0_14default_configENS1_22reduce_config_selectorIfEEZNS1_11reduce_implILb1ES3_N6thrust23THRUST_200600_302600_NS11hip_rocprim26transform_input_iterator_tIfNS8_17counting_iteratorIiNS8_11use_defaultESC_SC_EE11estimate_piEEPffNS8_4plusIfEEEE10hipError_tPvRmT1_T2_T3_mT4_P12ihipStream_tbEUlT_E0_NS1_11comp_targetILNS1_3genE3ELNS1_11target_archE908ELNS1_3gpuE7ELNS1_3repE0EEENS1_30default_config_static_selectorELNS0_4arch9wavefront6targetE1EEEvSM_.num_named_barrier, 0
	.set _ZN7rocprim17ROCPRIM_400000_NS6detail17trampoline_kernelINS0_14default_configENS1_22reduce_config_selectorIfEEZNS1_11reduce_implILb1ES3_N6thrust23THRUST_200600_302600_NS11hip_rocprim26transform_input_iterator_tIfNS8_17counting_iteratorIiNS8_11use_defaultESC_SC_EE11estimate_piEEPffNS8_4plusIfEEEE10hipError_tPvRmT1_T2_T3_mT4_P12ihipStream_tbEUlT_E0_NS1_11comp_targetILNS1_3genE3ELNS1_11target_archE908ELNS1_3gpuE7ELNS1_3repE0EEENS1_30default_config_static_selectorELNS0_4arch9wavefront6targetE1EEEvSM_.private_seg_size, 0
	.set _ZN7rocprim17ROCPRIM_400000_NS6detail17trampoline_kernelINS0_14default_configENS1_22reduce_config_selectorIfEEZNS1_11reduce_implILb1ES3_N6thrust23THRUST_200600_302600_NS11hip_rocprim26transform_input_iterator_tIfNS8_17counting_iteratorIiNS8_11use_defaultESC_SC_EE11estimate_piEEPffNS8_4plusIfEEEE10hipError_tPvRmT1_T2_T3_mT4_P12ihipStream_tbEUlT_E0_NS1_11comp_targetILNS1_3genE3ELNS1_11target_archE908ELNS1_3gpuE7ELNS1_3repE0EEENS1_30default_config_static_selectorELNS0_4arch9wavefront6targetE1EEEvSM_.uses_vcc, 0
	.set _ZN7rocprim17ROCPRIM_400000_NS6detail17trampoline_kernelINS0_14default_configENS1_22reduce_config_selectorIfEEZNS1_11reduce_implILb1ES3_N6thrust23THRUST_200600_302600_NS11hip_rocprim26transform_input_iterator_tIfNS8_17counting_iteratorIiNS8_11use_defaultESC_SC_EE11estimate_piEEPffNS8_4plusIfEEEE10hipError_tPvRmT1_T2_T3_mT4_P12ihipStream_tbEUlT_E0_NS1_11comp_targetILNS1_3genE3ELNS1_11target_archE908ELNS1_3gpuE7ELNS1_3repE0EEENS1_30default_config_static_selectorELNS0_4arch9wavefront6targetE1EEEvSM_.uses_flat_scratch, 0
	.set _ZN7rocprim17ROCPRIM_400000_NS6detail17trampoline_kernelINS0_14default_configENS1_22reduce_config_selectorIfEEZNS1_11reduce_implILb1ES3_N6thrust23THRUST_200600_302600_NS11hip_rocprim26transform_input_iterator_tIfNS8_17counting_iteratorIiNS8_11use_defaultESC_SC_EE11estimate_piEEPffNS8_4plusIfEEEE10hipError_tPvRmT1_T2_T3_mT4_P12ihipStream_tbEUlT_E0_NS1_11comp_targetILNS1_3genE3ELNS1_11target_archE908ELNS1_3gpuE7ELNS1_3repE0EEENS1_30default_config_static_selectorELNS0_4arch9wavefront6targetE1EEEvSM_.has_dyn_sized_stack, 0
	.set _ZN7rocprim17ROCPRIM_400000_NS6detail17trampoline_kernelINS0_14default_configENS1_22reduce_config_selectorIfEEZNS1_11reduce_implILb1ES3_N6thrust23THRUST_200600_302600_NS11hip_rocprim26transform_input_iterator_tIfNS8_17counting_iteratorIiNS8_11use_defaultESC_SC_EE11estimate_piEEPffNS8_4plusIfEEEE10hipError_tPvRmT1_T2_T3_mT4_P12ihipStream_tbEUlT_E0_NS1_11comp_targetILNS1_3genE3ELNS1_11target_archE908ELNS1_3gpuE7ELNS1_3repE0EEENS1_30default_config_static_selectorELNS0_4arch9wavefront6targetE1EEEvSM_.has_recursion, 0
	.set _ZN7rocprim17ROCPRIM_400000_NS6detail17trampoline_kernelINS0_14default_configENS1_22reduce_config_selectorIfEEZNS1_11reduce_implILb1ES3_N6thrust23THRUST_200600_302600_NS11hip_rocprim26transform_input_iterator_tIfNS8_17counting_iteratorIiNS8_11use_defaultESC_SC_EE11estimate_piEEPffNS8_4plusIfEEEE10hipError_tPvRmT1_T2_T3_mT4_P12ihipStream_tbEUlT_E0_NS1_11comp_targetILNS1_3genE3ELNS1_11target_archE908ELNS1_3gpuE7ELNS1_3repE0EEENS1_30default_config_static_selectorELNS0_4arch9wavefront6targetE1EEEvSM_.has_indirect_call, 0
	.section	.AMDGPU.csdata,"",@progbits
; Kernel info:
; codeLenInByte = 0
; TotalNumSgprs: 4
; NumVgprs: 0
; ScratchSize: 0
; MemoryBound: 0
; FloatMode: 240
; IeeeMode: 1
; LDSByteSize: 0 bytes/workgroup (compile time only)
; SGPRBlocks: 0
; VGPRBlocks: 0
; NumSGPRsForWavesPerEU: 4
; NumVGPRsForWavesPerEU: 1
; Occupancy: 10
; WaveLimiterHint : 0
; COMPUTE_PGM_RSRC2:SCRATCH_EN: 0
; COMPUTE_PGM_RSRC2:USER_SGPR: 6
; COMPUTE_PGM_RSRC2:TRAP_HANDLER: 0
; COMPUTE_PGM_RSRC2:TGID_X_EN: 1
; COMPUTE_PGM_RSRC2:TGID_Y_EN: 0
; COMPUTE_PGM_RSRC2:TGID_Z_EN: 0
; COMPUTE_PGM_RSRC2:TIDIG_COMP_CNT: 0
	.section	.text._ZN7rocprim17ROCPRIM_400000_NS6detail17trampoline_kernelINS0_14default_configENS1_22reduce_config_selectorIfEEZNS1_11reduce_implILb1ES3_N6thrust23THRUST_200600_302600_NS11hip_rocprim26transform_input_iterator_tIfNS8_17counting_iteratorIiNS8_11use_defaultESC_SC_EE11estimate_piEEPffNS8_4plusIfEEEE10hipError_tPvRmT1_T2_T3_mT4_P12ihipStream_tbEUlT_E0_NS1_11comp_targetILNS1_3genE2ELNS1_11target_archE906ELNS1_3gpuE6ELNS1_3repE0EEENS1_30default_config_static_selectorELNS0_4arch9wavefront6targetE1EEEvSM_,"axG",@progbits,_ZN7rocprim17ROCPRIM_400000_NS6detail17trampoline_kernelINS0_14default_configENS1_22reduce_config_selectorIfEEZNS1_11reduce_implILb1ES3_N6thrust23THRUST_200600_302600_NS11hip_rocprim26transform_input_iterator_tIfNS8_17counting_iteratorIiNS8_11use_defaultESC_SC_EE11estimate_piEEPffNS8_4plusIfEEEE10hipError_tPvRmT1_T2_T3_mT4_P12ihipStream_tbEUlT_E0_NS1_11comp_targetILNS1_3genE2ELNS1_11target_archE906ELNS1_3gpuE6ELNS1_3repE0EEENS1_30default_config_static_selectorELNS0_4arch9wavefront6targetE1EEEvSM_,comdat
	.protected	_ZN7rocprim17ROCPRIM_400000_NS6detail17trampoline_kernelINS0_14default_configENS1_22reduce_config_selectorIfEEZNS1_11reduce_implILb1ES3_N6thrust23THRUST_200600_302600_NS11hip_rocprim26transform_input_iterator_tIfNS8_17counting_iteratorIiNS8_11use_defaultESC_SC_EE11estimate_piEEPffNS8_4plusIfEEEE10hipError_tPvRmT1_T2_T3_mT4_P12ihipStream_tbEUlT_E0_NS1_11comp_targetILNS1_3genE2ELNS1_11target_archE906ELNS1_3gpuE6ELNS1_3repE0EEENS1_30default_config_static_selectorELNS0_4arch9wavefront6targetE1EEEvSM_ ; -- Begin function _ZN7rocprim17ROCPRIM_400000_NS6detail17trampoline_kernelINS0_14default_configENS1_22reduce_config_selectorIfEEZNS1_11reduce_implILb1ES3_N6thrust23THRUST_200600_302600_NS11hip_rocprim26transform_input_iterator_tIfNS8_17counting_iteratorIiNS8_11use_defaultESC_SC_EE11estimate_piEEPffNS8_4plusIfEEEE10hipError_tPvRmT1_T2_T3_mT4_P12ihipStream_tbEUlT_E0_NS1_11comp_targetILNS1_3genE2ELNS1_11target_archE906ELNS1_3gpuE6ELNS1_3repE0EEENS1_30default_config_static_selectorELNS0_4arch9wavefront6targetE1EEEvSM_
	.globl	_ZN7rocprim17ROCPRIM_400000_NS6detail17trampoline_kernelINS0_14default_configENS1_22reduce_config_selectorIfEEZNS1_11reduce_implILb1ES3_N6thrust23THRUST_200600_302600_NS11hip_rocprim26transform_input_iterator_tIfNS8_17counting_iteratorIiNS8_11use_defaultESC_SC_EE11estimate_piEEPffNS8_4plusIfEEEE10hipError_tPvRmT1_T2_T3_mT4_P12ihipStream_tbEUlT_E0_NS1_11comp_targetILNS1_3genE2ELNS1_11target_archE906ELNS1_3gpuE6ELNS1_3repE0EEENS1_30default_config_static_selectorELNS0_4arch9wavefront6targetE1EEEvSM_
	.p2align	8
	.type	_ZN7rocprim17ROCPRIM_400000_NS6detail17trampoline_kernelINS0_14default_configENS1_22reduce_config_selectorIfEEZNS1_11reduce_implILb1ES3_N6thrust23THRUST_200600_302600_NS11hip_rocprim26transform_input_iterator_tIfNS8_17counting_iteratorIiNS8_11use_defaultESC_SC_EE11estimate_piEEPffNS8_4plusIfEEEE10hipError_tPvRmT1_T2_T3_mT4_P12ihipStream_tbEUlT_E0_NS1_11comp_targetILNS1_3genE2ELNS1_11target_archE906ELNS1_3gpuE6ELNS1_3repE0EEENS1_30default_config_static_selectorELNS0_4arch9wavefront6targetE1EEEvSM_,@function
_ZN7rocprim17ROCPRIM_400000_NS6detail17trampoline_kernelINS0_14default_configENS1_22reduce_config_selectorIfEEZNS1_11reduce_implILb1ES3_N6thrust23THRUST_200600_302600_NS11hip_rocprim26transform_input_iterator_tIfNS8_17counting_iteratorIiNS8_11use_defaultESC_SC_EE11estimate_piEEPffNS8_4plusIfEEEE10hipError_tPvRmT1_T2_T3_mT4_P12ihipStream_tbEUlT_E0_NS1_11comp_targetILNS1_3genE2ELNS1_11target_archE906ELNS1_3gpuE6ELNS1_3repE0EEENS1_30default_config_static_selectorELNS0_4arch9wavefront6targetE1EEEvSM_: ; @_ZN7rocprim17ROCPRIM_400000_NS6detail17trampoline_kernelINS0_14default_configENS1_22reduce_config_selectorIfEEZNS1_11reduce_implILb1ES3_N6thrust23THRUST_200600_302600_NS11hip_rocprim26transform_input_iterator_tIfNS8_17counting_iteratorIiNS8_11use_defaultESC_SC_EE11estimate_piEEPffNS8_4plusIfEEEE10hipError_tPvRmT1_T2_T3_mT4_P12ihipStream_tbEUlT_E0_NS1_11comp_targetILNS1_3genE2ELNS1_11target_archE906ELNS1_3gpuE6ELNS1_3repE0EEENS1_30default_config_static_selectorELNS0_4arch9wavefront6targetE1EEEvSM_
; %bb.0:
	s_load_dwordx8 s[8:15], s[4:5], 0x8
	s_load_dword s2, s[4:5], 0x0
	s_load_dwordx2 s[16:17], s[4:5], 0x28
	s_lshl_b32 s18, s6, 10
	s_mov_b32 s7, 0
	s_waitcnt lgkmcnt(0)
	s_lshr_b64 s[0:1], s[10:11], 10
	s_add_i32 s20, s2, s18
	s_add_i32 s20, s20, s8
	s_cmp_lg_u64 s[0:1], s[6:7]
	s_cbranch_scc0 .LBB22_14
; %bb.1:
	v_add_u32_e32 v2, s20, v0
	v_lshlrev_b32_e32 v1, 12, v2
	s_mov_b32 s0, 0x7ed55d16
	v_add3_u32 v1, v2, v1, s0
	v_lshrrev_b32_e32 v3, 19, v1
	v_xor_b32_e32 v1, v1, v3
	v_xor_b32_e32 v1, 0xc761c23c, v1
	v_lshl_add_u32 v1, v1, 5, v1
	v_mov_b32_e32 v4, 0xaccf6200
	v_add_u32_e32 v3, 0xe9f8cc1d, v1
	v_lshl_add_u32 v1, v1, 9, v4
	v_xor_b32_e32 v1, v3, v1
	v_lshlrev_b32_e32 v3, 3, v1
	s_mov_b32 s0, 0xfd7046c5
	v_add3_u32 v1, v1, v3, s0
	v_xor_b32_sdwa v1, v1, v1 dst_sel:DWORD dst_unused:UNUSED_PAD src0_sel:DWORD src1_sel:WORD_1
	v_xor_b32_e32 v3, 0xb55a4f09, v1
	v_mul_hi_u32 v1, v3, 3
	s_brev_b32 s0, -2
	s_movk_i32 s2, 0x2710
	s_mov_b32 s3, 0xbc8f1391
	v_sub_u32_e32 v4, v3, v1
	v_lshrrev_b32_e32 v4, 1, v4
	v_add_u32_e32 v1, v4, v1
	v_lshrrev_b32_e32 v1, 30, v1
	v_mul_lo_u32 v4, v1, s0
	v_mov_b32_e32 v1, 0
	s_mov_b32 s8, 0xbc8f
	s_brev_b32 s9, 12
	v_sub_u32_e32 v3, v3, v4
	v_max_u32_e32 v4, 1, v3
	s_mov_b32 s19, 0xf800000
	v_mov_b32_e32 v3, 0x260
.LBB22_2:                               ; =>This Inner Loop Header: Depth=1
	v_mul_hi_u32 v5, v4, s3
	v_add_f32_e32 v6, 1.0, v1
	s_add_i32 s2, s2, -2
	s_cmp_lg_u32 s2, 0
	v_lshrrev_b32_e32 v5, 15, v5
	v_mul_u32_u24_e32 v7, 0xadc8, v5
	v_sub_u32_e32 v4, v4, v7
	v_mul_lo_u32 v4, v4, s8
	v_mul_u32_u24_e32 v5, 0xd47, v5
	v_xor_b32_e32 v7, 0x7fffffff, v5
	v_sub_u32_e32 v8, 0, v5
	v_cmp_lt_u32_e32 vcc, v4, v5
	v_cndmask_b32_e32 v5, v8, v7, vcc
	v_add_u32_e32 v4, v5, v4
	v_mul_hi_u32 v7, v4, s3
	v_add_u32_e32 v5, -1, v4
	v_cvt_f32_u32_e32 v5, v5
	v_lshrrev_b32_e32 v7, 15, v7
	v_mul_u32_u24_e32 v8, 0xadc8, v7
	v_sub_u32_e32 v4, v4, v8
	v_mul_lo_u32 v4, v4, s8
	v_mul_u32_u24_e32 v7, 0xd47, v7
	v_xor_b32_e32 v8, 0x7fffffff, v7
	v_sub_u32_e32 v9, 0, v7
	v_cmp_lt_u32_e32 vcc, v4, v7
	v_cndmask_b32_e32 v7, v9, v8, vcc
	v_add_u32_e32 v4, v7, v4
	v_mul_hi_u32 v8, v4, s3
	v_add_u32_e32 v7, -1, v4
	v_cvt_f32_u32_e32 v7, v7
	v_fma_f32 v5, v5, s9, 0
	v_lshrrev_b32_e32 v8, 15, v8
	v_mul_u32_u24_e32 v9, 0xadc8, v8
	v_fma_f32 v7, v7, s9, 0
	v_sub_u32_e32 v4, v4, v9
	v_mul_f32_e32 v7, v7, v7
	v_mul_lo_u32 v4, v4, s8
	v_fmac_f32_e32 v7, v5, v5
	v_mul_f32_e32 v5, 0x4f800000, v7
	v_cmp_gt_f32_e32 vcc, s19, v7
	v_mul_u32_u24_e32 v8, 0xd47, v8
	v_cndmask_b32_e32 v5, v7, v5, vcc
	v_xor_b32_e32 v9, 0x7fffffff, v8
	v_sub_u32_e32 v10, 0, v8
	v_sqrt_f32_e32 v7, v5
	v_cmp_lt_u32_e64 s[0:1], v4, v8
	v_cndmask_b32_e64 v8, v10, v9, s[0:1]
	v_add_u32_e32 v4, v8, v4
	v_mul_hi_u32 v9, v4, s3
	v_add_u32_e32 v10, -1, v7
	v_add_u32_e32 v11, 1, v7
	v_fma_f32 v12, -v10, v7, v5
	v_fma_f32 v13, -v11, v7, v5
	v_cmp_ge_f32_e64 s[0:1], 0, v12
	v_cndmask_b32_e64 v7, v7, v10, s[0:1]
	v_cmp_lt_f32_e64 s[0:1], 0, v13
	v_lshrrev_b32_e32 v9, 15, v9
	v_cndmask_b32_e64 v7, v7, v11, s[0:1]
	v_mul_u32_u24_e32 v11, 0xadc8, v9
	v_add_u32_e32 v8, -1, v4
	v_sub_u32_e32 v4, v4, v11
	v_mul_f32_e32 v10, 0x37800000, v7
	v_mul_lo_u32 v4, v4, s8
	v_cndmask_b32_e32 v7, v7, v10, vcc
	v_cmp_class_f32_e32 vcc, v5, v3
	v_cndmask_b32_e32 v5, v7, v5, vcc
	v_mul_u32_u24_e32 v9, 0xd47, v9
	v_cmp_nge_f32_e32 vcc, 1.0, v5
	v_xor_b32_e32 v10, 0x7fffffff, v9
	v_sub_u32_e32 v11, 0, v9
	v_cndmask_b32_e32 v1, v6, v1, vcc
	v_cmp_lt_u32_e32 vcc, v4, v9
	v_cndmask_b32_e32 v6, v11, v10, vcc
	v_add_u32_e32 v4, v6, v4
	v_add_u32_e32 v6, -1, v4
	v_cvt_f32_u32_e32 v6, v6
	v_cvt_f32_u32_e32 v8, v8
	v_add_f32_e32 v5, 1.0, v1
	v_fma_f32 v6, v6, s9, 0
	v_fma_f32 v8, v8, s9, 0
	v_mul_f32_e32 v6, v6, v6
	v_fmac_f32_e32 v6, v8, v8
	v_mul_f32_e32 v7, 0x4f800000, v6
	v_cmp_gt_f32_e32 vcc, s19, v6
	v_cndmask_b32_e32 v6, v6, v7, vcc
	v_sqrt_f32_e32 v7, v6
	v_add_u32_e32 v8, -1, v7
	v_add_u32_e32 v9, 1, v7
	v_fma_f32 v10, -v8, v7, v6
	v_fma_f32 v11, -v9, v7, v6
	v_cmp_ge_f32_e64 s[0:1], 0, v10
	v_cndmask_b32_e64 v7, v7, v8, s[0:1]
	v_cmp_lt_f32_e64 s[0:1], 0, v11
	v_cndmask_b32_e64 v7, v7, v9, s[0:1]
	v_mul_f32_e32 v8, 0x37800000, v7
	v_cndmask_b32_e32 v7, v7, v8, vcc
	v_cmp_class_f32_e32 vcc, v6, v3
	v_cndmask_b32_e32 v6, v7, v6, vcc
	v_cmp_nge_f32_e32 vcc, 1.0, v6
	v_cndmask_b32_e32 v1, v5, v1, vcc
	s_cbranch_scc1 .LBB22_2
; %bb.3:
	v_lshl_add_u32 v3, v2, 12, v2
	v_add_u32_e32 v2, 0x7ee55e16, v3
	v_lshrrev_b32_e32 v4, 19, v2
	v_xor_b32_e32 v2, v2, v4
	v_xor_b32_e32 v2, 0xc761c23c, v2
	v_lshl_add_u32 v2, v2, 5, v2
	v_mov_b32_e32 v5, 0xaccf6200
	v_add_u32_e32 v4, 0xe9f8cc1d, v2
	v_lshl_add_u32 v2, v2, 9, v5
	v_xor_b32_e32 v2, v4, v2
	v_lshlrev_b32_e32 v4, 3, v2
	s_mov_b32 s0, 0xfd7046c5
	v_add3_u32 v2, v2, v4, s0
	v_xor_b32_sdwa v2, v2, v2 dst_sel:DWORD dst_unused:UNUSED_PAD src0_sel:DWORD src1_sel:WORD_1
	v_xor_b32_e32 v4, 0xb55a4f09, v2
	v_mul_hi_u32 v2, v4, 3
	s_brev_b32 s0, -2
	s_movk_i32 s2, 0x2710
	s_mov_b32 s3, 0xbc8f1391
	v_sub_u32_e32 v5, v4, v2
	v_lshrrev_b32_e32 v5, 1, v5
	v_add_u32_e32 v2, v5, v2
	v_lshrrev_b32_e32 v2, 30, v2
	v_mul_lo_u32 v5, v2, s0
	v_mov_b32_e32 v2, 0
	s_mov_b32 s8, 0xbc8f
	s_brev_b32 s9, 12
	v_sub_u32_e32 v4, v4, v5
	v_max_u32_e32 v5, 1, v4
	s_mov_b32 s19, 0xf800000
	v_mov_b32_e32 v4, 0x260
.LBB22_4:                               ; =>This Inner Loop Header: Depth=1
	v_mul_hi_u32 v6, v5, s3
	v_add_f32_e32 v7, 1.0, v2
	s_add_i32 s2, s2, -2
	s_cmp_lg_u32 s2, 0
	v_lshrrev_b32_e32 v6, 15, v6
	v_mul_u32_u24_e32 v8, 0xadc8, v6
	v_sub_u32_e32 v5, v5, v8
	v_mul_lo_u32 v5, v5, s8
	v_mul_u32_u24_e32 v6, 0xd47, v6
	v_xor_b32_e32 v8, 0x7fffffff, v6
	v_sub_u32_e32 v9, 0, v6
	v_cmp_lt_u32_e32 vcc, v5, v6
	v_cndmask_b32_e32 v6, v9, v8, vcc
	v_add_u32_e32 v5, v6, v5
	v_mul_hi_u32 v8, v5, s3
	v_add_u32_e32 v6, -1, v5
	v_cvt_f32_u32_e32 v6, v6
	v_lshrrev_b32_e32 v8, 15, v8
	v_mul_u32_u24_e32 v9, 0xadc8, v8
	v_sub_u32_e32 v5, v5, v9
	v_mul_lo_u32 v5, v5, s8
	v_mul_u32_u24_e32 v8, 0xd47, v8
	v_xor_b32_e32 v9, 0x7fffffff, v8
	v_sub_u32_e32 v10, 0, v8
	v_cmp_lt_u32_e32 vcc, v5, v8
	v_cndmask_b32_e32 v8, v10, v9, vcc
	v_add_u32_e32 v5, v8, v5
	v_mul_hi_u32 v9, v5, s3
	v_add_u32_e32 v8, -1, v5
	v_cvt_f32_u32_e32 v8, v8
	v_fma_f32 v6, v6, s9, 0
	v_lshrrev_b32_e32 v9, 15, v9
	v_mul_u32_u24_e32 v10, 0xadc8, v9
	v_fma_f32 v8, v8, s9, 0
	v_sub_u32_e32 v5, v5, v10
	v_mul_f32_e32 v8, v8, v8
	v_mul_lo_u32 v5, v5, s8
	v_fmac_f32_e32 v8, v6, v6
	v_mul_f32_e32 v6, 0x4f800000, v8
	v_cmp_gt_f32_e32 vcc, s19, v8
	v_mul_u32_u24_e32 v9, 0xd47, v9
	v_cndmask_b32_e32 v6, v8, v6, vcc
	v_xor_b32_e32 v10, 0x7fffffff, v9
	v_sub_u32_e32 v11, 0, v9
	v_sqrt_f32_e32 v8, v6
	v_cmp_lt_u32_e64 s[0:1], v5, v9
	v_cndmask_b32_e64 v9, v11, v10, s[0:1]
	v_add_u32_e32 v5, v9, v5
	v_mul_hi_u32 v10, v5, s3
	v_add_u32_e32 v11, -1, v8
	v_add_u32_e32 v12, 1, v8
	v_fma_f32 v13, -v11, v8, v6
	v_fma_f32 v14, -v12, v8, v6
	v_cmp_ge_f32_e64 s[0:1], 0, v13
	v_cndmask_b32_e64 v8, v8, v11, s[0:1]
	v_cmp_lt_f32_e64 s[0:1], 0, v14
	v_lshrrev_b32_e32 v10, 15, v10
	v_cndmask_b32_e64 v8, v8, v12, s[0:1]
	v_mul_u32_u24_e32 v12, 0xadc8, v10
	v_add_u32_e32 v9, -1, v5
	v_sub_u32_e32 v5, v5, v12
	v_mul_f32_e32 v11, 0x37800000, v8
	v_mul_lo_u32 v5, v5, s8
	v_cndmask_b32_e32 v8, v8, v11, vcc
	v_cmp_class_f32_e32 vcc, v6, v4
	v_cndmask_b32_e32 v6, v8, v6, vcc
	v_mul_u32_u24_e32 v10, 0xd47, v10
	v_cmp_nge_f32_e32 vcc, 1.0, v6
	v_xor_b32_e32 v11, 0x7fffffff, v10
	v_sub_u32_e32 v12, 0, v10
	v_cndmask_b32_e32 v2, v7, v2, vcc
	v_cmp_lt_u32_e32 vcc, v5, v10
	v_cndmask_b32_e32 v7, v12, v11, vcc
	v_add_u32_e32 v5, v7, v5
	v_add_u32_e32 v7, -1, v5
	v_cvt_f32_u32_e32 v7, v7
	v_cvt_f32_u32_e32 v9, v9
	v_add_f32_e32 v6, 1.0, v2
	v_fma_f32 v7, v7, s9, 0
	v_fma_f32 v9, v9, s9, 0
	v_mul_f32_e32 v7, v7, v7
	v_fmac_f32_e32 v7, v9, v9
	v_mul_f32_e32 v8, 0x4f800000, v7
	v_cmp_gt_f32_e32 vcc, s19, v7
	v_cndmask_b32_e32 v7, v7, v8, vcc
	v_sqrt_f32_e32 v8, v7
	v_add_u32_e32 v9, -1, v8
	v_add_u32_e32 v10, 1, v8
	v_fma_f32 v11, -v9, v8, v7
	v_fma_f32 v12, -v10, v8, v7
	v_cmp_ge_f32_e64 s[0:1], 0, v11
	v_cndmask_b32_e64 v8, v8, v9, s[0:1]
	v_cmp_lt_f32_e64 s[0:1], 0, v12
	v_cndmask_b32_e64 v8, v8, v10, s[0:1]
	v_mul_f32_e32 v9, 0x37800000, v8
	v_cndmask_b32_e32 v8, v8, v9, vcc
	v_cmp_class_f32_e32 vcc, v7, v4
	v_cndmask_b32_e32 v7, v8, v7, vcc
	v_cmp_nge_f32_e32 vcc, 1.0, v7
	v_cndmask_b32_e32 v2, v6, v2, vcc
	s_cbranch_scc1 .LBB22_4
; %bb.5:
	v_add_u32_e32 v4, 0x7ef55f16, v3
	v_lshrrev_b32_e32 v5, 19, v4
	v_xor_b32_e32 v4, v4, v5
	v_xor_b32_e32 v4, 0xc761c23c, v4
	v_lshl_add_u32 v4, v4, 5, v4
	v_mov_b32_e32 v6, 0xaccf6200
	v_add_u32_e32 v5, 0xe9f8cc1d, v4
	v_lshl_add_u32 v4, v4, 9, v6
	v_xor_b32_e32 v4, v5, v4
	v_lshlrev_b32_e32 v5, 3, v4
	s_mov_b32 s0, 0xfd7046c5
	v_add3_u32 v4, v4, v5, s0
	v_xor_b32_sdwa v4, v4, v4 dst_sel:DWORD dst_unused:UNUSED_PAD src0_sel:DWORD src1_sel:WORD_1
	v_xor_b32_e32 v5, 0xb55a4f09, v4
	v_mul_hi_u32 v4, v5, 3
	s_brev_b32 s0, -2
	s_movk_i32 s2, 0x2710
	s_mov_b32 s3, 0xbc8f1391
	v_sub_u32_e32 v6, v5, v4
	v_lshrrev_b32_e32 v6, 1, v6
	v_add_u32_e32 v4, v6, v4
	v_lshrrev_b32_e32 v4, 30, v4
	v_mul_lo_u32 v6, v4, s0
	v_mov_b32_e32 v4, 0
	s_mov_b32 s8, 0xbc8f
	s_brev_b32 s9, 12
	v_sub_u32_e32 v5, v5, v6
	v_max_u32_e32 v6, 1, v5
	s_mov_b32 s19, 0xf800000
	v_mov_b32_e32 v5, 0x260
.LBB22_6:                               ; =>This Inner Loop Header: Depth=1
	v_mul_hi_u32 v7, v6, s3
	v_add_f32_e32 v8, 1.0, v4
	s_add_i32 s2, s2, -2
	s_cmp_lg_u32 s2, 0
	v_lshrrev_b32_e32 v7, 15, v7
	v_mul_u32_u24_e32 v9, 0xadc8, v7
	v_sub_u32_e32 v6, v6, v9
	v_mul_lo_u32 v6, v6, s8
	v_mul_u32_u24_e32 v7, 0xd47, v7
	v_xor_b32_e32 v9, 0x7fffffff, v7
	v_sub_u32_e32 v10, 0, v7
	v_cmp_lt_u32_e32 vcc, v6, v7
	v_cndmask_b32_e32 v7, v10, v9, vcc
	v_add_u32_e32 v6, v7, v6
	v_mul_hi_u32 v9, v6, s3
	v_add_u32_e32 v7, -1, v6
	v_cvt_f32_u32_e32 v7, v7
	v_lshrrev_b32_e32 v9, 15, v9
	v_mul_u32_u24_e32 v10, 0xadc8, v9
	v_sub_u32_e32 v6, v6, v10
	v_mul_lo_u32 v6, v6, s8
	v_mul_u32_u24_e32 v9, 0xd47, v9
	v_xor_b32_e32 v10, 0x7fffffff, v9
	v_sub_u32_e32 v11, 0, v9
	v_cmp_lt_u32_e32 vcc, v6, v9
	v_cndmask_b32_e32 v9, v11, v10, vcc
	v_add_u32_e32 v6, v9, v6
	v_mul_hi_u32 v10, v6, s3
	v_add_u32_e32 v9, -1, v6
	v_cvt_f32_u32_e32 v9, v9
	v_fma_f32 v7, v7, s9, 0
	v_lshrrev_b32_e32 v10, 15, v10
	v_mul_u32_u24_e32 v11, 0xadc8, v10
	v_fma_f32 v9, v9, s9, 0
	v_sub_u32_e32 v6, v6, v11
	v_mul_f32_e32 v9, v9, v9
	v_mul_lo_u32 v6, v6, s8
	v_fmac_f32_e32 v9, v7, v7
	v_mul_f32_e32 v7, 0x4f800000, v9
	v_cmp_gt_f32_e32 vcc, s19, v9
	v_mul_u32_u24_e32 v10, 0xd47, v10
	v_cndmask_b32_e32 v7, v9, v7, vcc
	v_xor_b32_e32 v11, 0x7fffffff, v10
	v_sub_u32_e32 v12, 0, v10
	v_sqrt_f32_e32 v9, v7
	v_cmp_lt_u32_e64 s[0:1], v6, v10
	v_cndmask_b32_e64 v10, v12, v11, s[0:1]
	v_add_u32_e32 v6, v10, v6
	v_mul_hi_u32 v11, v6, s3
	v_add_u32_e32 v12, -1, v9
	v_add_u32_e32 v13, 1, v9
	v_fma_f32 v14, -v12, v9, v7
	v_fma_f32 v15, -v13, v9, v7
	v_cmp_ge_f32_e64 s[0:1], 0, v14
	v_cndmask_b32_e64 v9, v9, v12, s[0:1]
	v_cmp_lt_f32_e64 s[0:1], 0, v15
	v_lshrrev_b32_e32 v11, 15, v11
	v_cndmask_b32_e64 v9, v9, v13, s[0:1]
	v_mul_u32_u24_e32 v13, 0xadc8, v11
	v_add_u32_e32 v10, -1, v6
	v_sub_u32_e32 v6, v6, v13
	v_mul_f32_e32 v12, 0x37800000, v9
	v_mul_lo_u32 v6, v6, s8
	v_cndmask_b32_e32 v9, v9, v12, vcc
	v_cmp_class_f32_e32 vcc, v7, v5
	v_cndmask_b32_e32 v7, v9, v7, vcc
	v_mul_u32_u24_e32 v11, 0xd47, v11
	v_cmp_nge_f32_e32 vcc, 1.0, v7
	v_xor_b32_e32 v12, 0x7fffffff, v11
	v_sub_u32_e32 v13, 0, v11
	v_cndmask_b32_e32 v4, v8, v4, vcc
	v_cmp_lt_u32_e32 vcc, v6, v11
	v_cndmask_b32_e32 v8, v13, v12, vcc
	v_add_u32_e32 v6, v8, v6
	v_add_u32_e32 v8, -1, v6
	v_cvt_f32_u32_e32 v8, v8
	v_cvt_f32_u32_e32 v10, v10
	v_add_f32_e32 v7, 1.0, v4
	v_fma_f32 v8, v8, s9, 0
	v_fma_f32 v10, v10, s9, 0
	v_mul_f32_e32 v8, v8, v8
	v_fmac_f32_e32 v8, v10, v10
	v_mul_f32_e32 v9, 0x4f800000, v8
	v_cmp_gt_f32_e32 vcc, s19, v8
	v_cndmask_b32_e32 v8, v8, v9, vcc
	v_sqrt_f32_e32 v9, v8
	v_add_u32_e32 v10, -1, v9
	v_add_u32_e32 v11, 1, v9
	v_fma_f32 v12, -v10, v9, v8
	v_fma_f32 v13, -v11, v9, v8
	v_cmp_ge_f32_e64 s[0:1], 0, v12
	v_cndmask_b32_e64 v9, v9, v10, s[0:1]
	v_cmp_lt_f32_e64 s[0:1], 0, v13
	v_cndmask_b32_e64 v9, v9, v11, s[0:1]
	v_mul_f32_e32 v10, 0x37800000, v9
	v_cndmask_b32_e32 v9, v9, v10, vcc
	v_cmp_class_f32_e32 vcc, v8, v5
	v_cndmask_b32_e32 v8, v9, v8, vcc
	v_cmp_nge_f32_e32 vcc, 1.0, v8
	v_cndmask_b32_e32 v4, v7, v4, vcc
	s_cbranch_scc1 .LBB22_6
; %bb.7:
	v_add_u32_e32 v3, 0x7f056016, v3
	v_lshrrev_b32_e32 v5, 19, v3
	v_xor_b32_e32 v3, v3, v5
	v_xor_b32_e32 v3, 0xc761c23c, v3
	v_lshl_add_u32 v3, v3, 5, v3
	v_mov_b32_e32 v6, 0xaccf6200
	v_add_u32_e32 v5, 0xe9f8cc1d, v3
	v_lshl_add_u32 v3, v3, 9, v6
	v_xor_b32_e32 v3, v5, v3
	v_lshlrev_b32_e32 v5, 3, v3
	s_mov_b32 s0, 0xfd7046c5
	v_add3_u32 v3, v3, v5, s0
	v_xor_b32_sdwa v3, v3, v3 dst_sel:DWORD dst_unused:UNUSED_PAD src0_sel:DWORD src1_sel:WORD_1
	v_xor_b32_e32 v5, 0xb55a4f09, v3
	v_mul_hi_u32 v3, v5, 3
	s_brev_b32 s0, -2
	s_movk_i32 s2, 0x2710
	s_mov_b32 s3, 0xbc8f1391
	v_sub_u32_e32 v6, v5, v3
	v_lshrrev_b32_e32 v6, 1, v6
	v_add_u32_e32 v3, v6, v3
	v_lshrrev_b32_e32 v3, 30, v3
	v_mul_lo_u32 v6, v3, s0
	v_mov_b32_e32 v3, 0
	s_mov_b32 s8, 0xbc8f
	s_brev_b32 s9, 12
	v_sub_u32_e32 v5, v5, v6
	v_max_u32_e32 v6, 1, v5
	s_mov_b32 s19, 0xf800000
	v_mov_b32_e32 v5, 0x260
.LBB22_8:                               ; =>This Inner Loop Header: Depth=1
	v_mul_hi_u32 v7, v6, s3
	v_add_f32_e32 v8, 1.0, v3
	s_add_i32 s2, s2, -2
	s_cmp_lg_u32 s2, 0
	v_lshrrev_b32_e32 v7, 15, v7
	v_mul_u32_u24_e32 v9, 0xadc8, v7
	v_sub_u32_e32 v6, v6, v9
	v_mul_lo_u32 v6, v6, s8
	v_mul_u32_u24_e32 v7, 0xd47, v7
	v_xor_b32_e32 v9, 0x7fffffff, v7
	v_sub_u32_e32 v10, 0, v7
	v_cmp_lt_u32_e32 vcc, v6, v7
	v_cndmask_b32_e32 v7, v10, v9, vcc
	v_add_u32_e32 v6, v7, v6
	v_mul_hi_u32 v9, v6, s3
	v_add_u32_e32 v7, -1, v6
	v_cvt_f32_u32_e32 v7, v7
	v_lshrrev_b32_e32 v9, 15, v9
	v_mul_u32_u24_e32 v10, 0xadc8, v9
	v_sub_u32_e32 v6, v6, v10
	v_mul_lo_u32 v6, v6, s8
	v_mul_u32_u24_e32 v9, 0xd47, v9
	v_xor_b32_e32 v10, 0x7fffffff, v9
	v_sub_u32_e32 v11, 0, v9
	v_cmp_lt_u32_e32 vcc, v6, v9
	v_cndmask_b32_e32 v9, v11, v10, vcc
	v_add_u32_e32 v6, v9, v6
	v_mul_hi_u32 v10, v6, s3
	v_add_u32_e32 v9, -1, v6
	v_cvt_f32_u32_e32 v9, v9
	v_fma_f32 v7, v7, s9, 0
	v_lshrrev_b32_e32 v10, 15, v10
	v_mul_u32_u24_e32 v11, 0xadc8, v10
	v_fma_f32 v9, v9, s9, 0
	v_sub_u32_e32 v6, v6, v11
	v_mul_f32_e32 v9, v9, v9
	v_mul_lo_u32 v6, v6, s8
	v_fmac_f32_e32 v9, v7, v7
	v_mul_f32_e32 v7, 0x4f800000, v9
	v_cmp_gt_f32_e32 vcc, s19, v9
	v_mul_u32_u24_e32 v10, 0xd47, v10
	v_cndmask_b32_e32 v7, v9, v7, vcc
	v_xor_b32_e32 v11, 0x7fffffff, v10
	v_sub_u32_e32 v12, 0, v10
	v_sqrt_f32_e32 v9, v7
	v_cmp_lt_u32_e64 s[0:1], v6, v10
	v_cndmask_b32_e64 v10, v12, v11, s[0:1]
	v_add_u32_e32 v6, v10, v6
	v_mul_hi_u32 v11, v6, s3
	v_add_u32_e32 v12, -1, v9
	v_add_u32_e32 v13, 1, v9
	v_fma_f32 v14, -v12, v9, v7
	v_fma_f32 v15, -v13, v9, v7
	v_cmp_ge_f32_e64 s[0:1], 0, v14
	v_cndmask_b32_e64 v9, v9, v12, s[0:1]
	v_cmp_lt_f32_e64 s[0:1], 0, v15
	v_lshrrev_b32_e32 v11, 15, v11
	v_cndmask_b32_e64 v9, v9, v13, s[0:1]
	v_mul_u32_u24_e32 v13, 0xadc8, v11
	v_add_u32_e32 v10, -1, v6
	v_sub_u32_e32 v6, v6, v13
	v_mul_f32_e32 v12, 0x37800000, v9
	v_mul_lo_u32 v6, v6, s8
	v_cndmask_b32_e32 v9, v9, v12, vcc
	v_cmp_class_f32_e32 vcc, v7, v5
	v_cndmask_b32_e32 v7, v9, v7, vcc
	v_mul_u32_u24_e32 v11, 0xd47, v11
	v_cmp_nge_f32_e32 vcc, 1.0, v7
	v_xor_b32_e32 v12, 0x7fffffff, v11
	v_sub_u32_e32 v13, 0, v11
	v_cndmask_b32_e32 v3, v8, v3, vcc
	v_cmp_lt_u32_e32 vcc, v6, v11
	v_cndmask_b32_e32 v8, v13, v12, vcc
	v_add_u32_e32 v6, v8, v6
	v_add_u32_e32 v8, -1, v6
	v_cvt_f32_u32_e32 v8, v8
	v_cvt_f32_u32_e32 v10, v10
	v_add_f32_e32 v7, 1.0, v3
	v_fma_f32 v8, v8, s9, 0
	v_fma_f32 v10, v10, s9, 0
	v_mul_f32_e32 v8, v8, v8
	v_fmac_f32_e32 v8, v10, v10
	v_mul_f32_e32 v9, 0x4f800000, v8
	v_cmp_gt_f32_e32 vcc, s19, v8
	v_cndmask_b32_e32 v8, v8, v9, vcc
	v_sqrt_f32_e32 v9, v8
	v_add_u32_e32 v10, -1, v9
	v_add_u32_e32 v11, 1, v9
	v_fma_f32 v12, -v10, v9, v8
	v_fma_f32 v13, -v11, v9, v8
	v_cmp_ge_f32_e64 s[0:1], 0, v12
	v_cndmask_b32_e64 v9, v9, v10, s[0:1]
	v_cmp_lt_f32_e64 s[0:1], 0, v13
	v_cndmask_b32_e64 v9, v9, v11, s[0:1]
	v_mul_f32_e32 v10, 0x37800000, v9
	v_cndmask_b32_e32 v9, v9, v10, vcc
	v_cmp_class_f32_e32 vcc, v8, v5
	v_cndmask_b32_e32 v8, v9, v8, vcc
	v_cmp_nge_f32_e32 vcc, 1.0, v8
	v_cndmask_b32_e32 v3, v7, v3, vcc
	s_cbranch_scc1 .LBB22_8
; %bb.9:
	v_mul_f32_e32 v1, 4.0, v1
	s_mov_b32 s19, 0x461c4000
	v_div_scale_f32 v5, s[0:1], s19, s19, v1
	v_mul_f32_e32 v2, 4.0, v2
	v_div_scale_f32 v7, vcc, v1, s19, v1
	v_div_scale_f32 v6, s[0:1], s19, s19, v2
	v_div_scale_f32 v8, s[0:1], v2, s19, v2
	v_mul_f32_e32 v4, 4.0, v4
	v_div_scale_f32 v9, s[2:3], s19, s19, v4
	v_div_scale_f32 v12, s[2:3], v4, s19, v4
	v_mul_f32_e32 v3, 4.0, v3
	v_rcp_f32_e32 v10, v5
	v_fma_f32 v13, -v5, v10, 1.0
	v_fmac_f32_e32 v10, v13, v10
	v_mul_f32_e32 v13, v7, v10
	v_rcp_f32_e32 v11, v6
	v_fma_f32 v15, -v5, v13, v7
	v_fmac_f32_e32 v13, v15, v10
	v_fma_f32 v5, -v5, v13, v7
	v_div_scale_f32 v7, s[8:9], s19, s19, v3
	v_fma_f32 v14, -v6, v11, 1.0
	v_fmac_f32_e32 v11, v14, v11
	v_div_fmas_f32 v5, v5, v10, v13
	v_mul_f32_e32 v10, v8, v11
	v_fma_f32 v13, -v6, v10, v8
	v_fmac_f32_e32 v10, v13, v11
	v_div_scale_f32 v13, s[8:9], v3, s19, v3
	v_rcp_f32_e32 v14, v9
	v_fma_f32 v6, -v6, v10, v8
	s_mov_b64 vcc, s[0:1]
	v_div_fmas_f32 v6, v6, v11, v10
	v_fma_f32 v8, -v9, v14, 1.0
	v_fmac_f32_e32 v14, v8, v14
	v_mul_f32_e32 v8, v12, v14
	v_fma_f32 v10, -v9, v8, v12
	v_fmac_f32_e32 v8, v10, v14
	v_rcp_f32_e32 v10, v7
	v_fma_f32 v9, -v9, v8, v12
	s_mov_b64 vcc, s[2:3]
	v_div_fmas_f32 v8, v9, v14, v8
	v_fma_f32 v9, -v7, v10, 1.0
	v_fmac_f32_e32 v10, v9, v10
	v_mul_f32_e32 v9, v13, v10
	v_fma_f32 v11, -v7, v9, v13
	v_fmac_f32_e32 v9, v11, v10
	v_fma_f32 v7, -v7, v9, v13
	s_mov_b64 vcc, s[8:9]
	v_div_fmas_f32 v7, v7, v10, v9
	v_div_fixup_f32 v1, v5, s19, v1
	v_div_fixup_f32 v2, v6, s19, v2
	v_add_f32_e32 v1, v1, v2
	v_mbcnt_lo_u32_b32 v2, -1, 0
	v_mbcnt_hi_u32_b32 v2, -1, v2
	v_cmp_eq_u32_e32 vcc, 0, v2
	v_div_fixup_f32 v4, v8, s19, v4
	v_add_f32_e32 v1, v1, v4
	v_div_fixup_f32 v3, v7, s19, v3
	v_add_f32_e32 v1, v1, v3
	v_lshlrev_b32_e32 v3, 2, v2
	v_or_b32_e32 v4, 0xfc, v3
	v_add_f32_dpp v1, v1, v1 quad_perm:[1,0,3,2] row_mask:0xf bank_mask:0xf bound_ctrl:1
	s_nop 1
	v_add_f32_dpp v1, v1, v1 quad_perm:[2,3,0,1] row_mask:0xf bank_mask:0xf bound_ctrl:1
	s_nop 1
	v_add_f32_dpp v1, v1, v1 row_ror:4 row_mask:0xf bank_mask:0xf bound_ctrl:1
	s_nop 1
	v_add_f32_dpp v1, v1, v1 row_ror:8 row_mask:0xf bank_mask:0xf bound_ctrl:1
	s_nop 1
	v_add_f32_dpp v1, v1, v1 row_bcast:15 row_mask:0xf bank_mask:0xf bound_ctrl:1
	s_nop 1
	v_add_f32_dpp v1, v1, v1 row_bcast:31 row_mask:0xf bank_mask:0xf bound_ctrl:1
	ds_bpermute_b32 v1, v4, v1
	s_and_saveexec_b64 s[0:1], vcc
	s_cbranch_execz .LBB22_11
; %bb.10:
	v_lshrrev_b32_e32 v4, 4, v0
	v_and_b32_e32 v4, 12, v4
	s_waitcnt lgkmcnt(0)
	ds_write_b32 v4, v1
.LBB22_11:
	s_or_b64 exec, exec, s[0:1]
	v_cmp_gt_u32_e32 vcc, 64, v0
	s_waitcnt lgkmcnt(0)
	s_barrier
	s_and_saveexec_b64 s[0:1], vcc
	s_cbranch_execz .LBB22_13
; %bb.12:
	v_and_b32_e32 v1, 3, v2
	v_lshlrev_b32_e32 v4, 2, v1
	ds_read_b32 v4, v4
	v_cmp_ne_u32_e32 vcc, 3, v1
	v_addc_co_u32_e32 v1, vcc, 0, v2, vcc
	v_lshlrev_b32_e32 v1, 2, v1
	s_waitcnt lgkmcnt(0)
	ds_bpermute_b32 v1, v1, v4
	v_or_b32_e32 v2, 8, v3
	s_waitcnt lgkmcnt(0)
	v_add_f32_e32 v1, v4, v1
	ds_bpermute_b32 v2, v2, v1
	s_waitcnt lgkmcnt(0)
	v_add_f32_e32 v1, v1, v2
.LBB22_13:
	s_or_b64 exec, exec, s[0:1]
	s_load_dword s21, s[4:5], 0x30
	s_branch .LBB22_36
.LBB22_14:
                                        ; implicit-def: $vgpr1
	s_load_dword s21, s[4:5], 0x30
	s_cbranch_execz .LBB22_36
; %bb.15:
	s_sub_i32 s22, s10, s18
	v_mov_b32_e32 v1, 0
	v_cmp_gt_u32_e32 vcc, s22, v0
	v_mov_b32_e32 v2, v1
	v_mov_b32_e32 v3, v1
	;; [unrolled: 1-line block ×3, first 2 shown]
	s_and_saveexec_b64 s[2:3], vcc
	s_cbranch_execz .LBB22_19
; %bb.16:
	v_add_u32_e32 v2, s20, v0
	v_lshlrev_b32_e32 v3, 12, v2
	s_mov_b32 s0, 0x7ed55d16
	v_add3_u32 v2, v2, v3, s0
	v_lshrrev_b32_e32 v3, 19, v2
	v_xor_b32_e32 v2, v2, v3
	v_xor_b32_e32 v2, 0xc761c23c, v2
	v_lshl_add_u32 v2, v2, 5, v2
	v_mov_b32_e32 v4, 0xaccf6200
	v_add_u32_e32 v3, 0xe9f8cc1d, v2
	v_lshl_add_u32 v2, v2, 9, v4
	v_xor_b32_e32 v2, v3, v2
	v_lshlrev_b32_e32 v3, 3, v2
	s_mov_b32 s0, 0xfd7046c5
	v_add3_u32 v2, v2, v3, s0
	v_xor_b32_sdwa v2, v2, v2 dst_sel:DWORD dst_unused:UNUSED_PAD src0_sel:DWORD src1_sel:WORD_1
	v_xor_b32_e32 v2, 0xb55a4f09, v2
	v_mul_hi_u32 v3, v2, 3
	s_brev_b32 s0, -2
	s_movk_i32 s4, 0x2710
	s_mov_b32 s5, 0xbc8f1391
	v_sub_u32_e32 v4, v2, v3
	v_lshrrev_b32_e32 v4, 1, v4
	v_add_u32_e32 v3, v4, v3
	v_lshrrev_b32_e32 v3, 30, v3
	v_mul_lo_u32 v3, v3, s0
	s_mov_b32 s8, 0xbc8f
	s_brev_b32 s9, 12
	s_mov_b32 s18, 0xf800000
	v_sub_u32_e32 v2, v2, v3
	v_max_u32_e32 v3, 1, v2
	v_mov_b32_e32 v2, 0x260
.LBB22_17:                              ; =>This Inner Loop Header: Depth=1
	v_mul_hi_u32 v4, v3, s5
	v_add_f32_e32 v5, 1.0, v1
	s_add_i32 s4, s4, -2
	s_cmp_lg_u32 s4, 0
	v_lshrrev_b32_e32 v4, 15, v4
	v_mul_u32_u24_e32 v6, 0xadc8, v4
	v_sub_u32_e32 v3, v3, v6
	v_mul_lo_u32 v3, v3, s8
	v_mul_u32_u24_e32 v4, 0xd47, v4
	v_xor_b32_e32 v6, 0x7fffffff, v4
	v_sub_u32_e32 v7, 0, v4
	v_cmp_lt_u32_e32 vcc, v3, v4
	v_cndmask_b32_e32 v4, v7, v6, vcc
	v_add_u32_e32 v3, v4, v3
	v_mul_hi_u32 v6, v3, s5
	v_add_u32_e32 v4, -1, v3
	v_cvt_f32_u32_e32 v4, v4
	v_lshrrev_b32_e32 v6, 15, v6
	v_mul_u32_u24_e32 v7, 0xadc8, v6
	v_sub_u32_e32 v3, v3, v7
	v_mul_lo_u32 v3, v3, s8
	v_mul_u32_u24_e32 v6, 0xd47, v6
	v_xor_b32_e32 v7, 0x7fffffff, v6
	v_sub_u32_e32 v8, 0, v6
	v_cmp_lt_u32_e32 vcc, v3, v6
	v_cndmask_b32_e32 v6, v8, v7, vcc
	v_add_u32_e32 v3, v6, v3
	v_mul_hi_u32 v7, v3, s5
	v_add_u32_e32 v6, -1, v3
	v_cvt_f32_u32_e32 v6, v6
	v_fma_f32 v4, v4, s9, 0
	v_lshrrev_b32_e32 v7, 15, v7
	v_mul_u32_u24_e32 v8, 0xadc8, v7
	v_fma_f32 v6, v6, s9, 0
	v_sub_u32_e32 v3, v3, v8
	v_mul_f32_e32 v6, v6, v6
	v_mul_lo_u32 v3, v3, s8
	v_fmac_f32_e32 v6, v4, v4
	v_mul_f32_e32 v4, 0x4f800000, v6
	v_cmp_gt_f32_e32 vcc, s18, v6
	v_mul_u32_u24_e32 v7, 0xd47, v7
	v_cndmask_b32_e32 v4, v6, v4, vcc
	v_xor_b32_e32 v8, 0x7fffffff, v7
	v_sub_u32_e32 v9, 0, v7
	v_sqrt_f32_e32 v6, v4
	v_cmp_lt_u32_e64 s[0:1], v3, v7
	v_cndmask_b32_e64 v7, v9, v8, s[0:1]
	v_add_u32_e32 v3, v7, v3
	v_mul_hi_u32 v8, v3, s5
	v_add_u32_e32 v9, -1, v6
	v_add_u32_e32 v10, 1, v6
	v_fma_f32 v11, -v9, v6, v4
	v_fma_f32 v12, -v10, v6, v4
	v_cmp_ge_f32_e64 s[0:1], 0, v11
	v_cndmask_b32_e64 v6, v6, v9, s[0:1]
	v_cmp_lt_f32_e64 s[0:1], 0, v12
	v_lshrrev_b32_e32 v8, 15, v8
	v_cndmask_b32_e64 v6, v6, v10, s[0:1]
	v_mul_u32_u24_e32 v10, 0xadc8, v8
	v_add_u32_e32 v7, -1, v3
	v_sub_u32_e32 v3, v3, v10
	v_mul_f32_e32 v9, 0x37800000, v6
	v_mul_lo_u32 v3, v3, s8
	v_cndmask_b32_e32 v6, v6, v9, vcc
	v_cmp_class_f32_e32 vcc, v4, v2
	v_cndmask_b32_e32 v4, v6, v4, vcc
	v_mul_u32_u24_e32 v8, 0xd47, v8
	v_cmp_nge_f32_e32 vcc, 1.0, v4
	v_xor_b32_e32 v9, 0x7fffffff, v8
	v_sub_u32_e32 v10, 0, v8
	v_cndmask_b32_e32 v1, v5, v1, vcc
	v_cmp_lt_u32_e32 vcc, v3, v8
	v_cndmask_b32_e32 v5, v10, v9, vcc
	v_add_u32_e32 v3, v5, v3
	v_add_u32_e32 v5, -1, v3
	v_cvt_f32_u32_e32 v5, v5
	v_cvt_f32_u32_e32 v7, v7
	v_add_f32_e32 v4, 1.0, v1
	v_fma_f32 v5, v5, s9, 0
	v_fma_f32 v7, v7, s9, 0
	v_mul_f32_e32 v5, v5, v5
	v_fmac_f32_e32 v5, v7, v7
	v_mul_f32_e32 v6, 0x4f800000, v5
	v_cmp_gt_f32_e32 vcc, s18, v5
	v_cndmask_b32_e32 v5, v5, v6, vcc
	v_sqrt_f32_e32 v6, v5
	v_add_u32_e32 v7, -1, v6
	v_add_u32_e32 v8, 1, v6
	v_fma_f32 v9, -v7, v6, v5
	v_fma_f32 v10, -v8, v6, v5
	v_cmp_ge_f32_e64 s[0:1], 0, v9
	v_cndmask_b32_e64 v6, v6, v7, s[0:1]
	v_cmp_lt_f32_e64 s[0:1], 0, v10
	v_cndmask_b32_e64 v6, v6, v8, s[0:1]
	v_mul_f32_e32 v7, 0x37800000, v6
	v_cndmask_b32_e32 v6, v6, v7, vcc
	v_cmp_class_f32_e32 vcc, v5, v2
	v_cndmask_b32_e32 v5, v6, v5, vcc
	v_cmp_nge_f32_e32 vcc, 1.0, v5
	v_cndmask_b32_e32 v1, v4, v1, vcc
	s_cbranch_scc1 .LBB22_17
; %bb.18:
	v_mul_f32_e32 v1, 4.0, v1
	s_mov_b32 s4, 0x461c4000
	v_div_scale_f32 v2, s[0:1], s4, s4, v1
	v_div_scale_f32 v3, vcc, v1, s4, v1
	v_rcp_f32_e32 v4, v2
	v_fma_f32 v5, -v2, v4, 1.0
	v_fmac_f32_e32 v4, v5, v4
	v_mul_f32_e32 v5, v3, v4
	v_fma_f32 v6, -v2, v5, v3
	v_fmac_f32_e32 v5, v6, v4
	v_fma_f32 v2, -v2, v5, v3
	v_div_fmas_f32 v4, v2, v4, v5
	v_mov_b32_e32 v2, 0
	v_mov_b32_e32 v3, v2
	v_div_fixup_f32 v1, v4, s4, v1
	v_mov_b32_e32 v4, v2
.LBB22_19:
	s_or_b64 exec, exec, s[2:3]
	v_or_b32_e32 v5, 0x100, v0
	v_cmp_gt_u32_e64 s[0:1], s22, v5
	s_and_saveexec_b64 s[4:5], s[0:1]
	s_cbranch_execz .LBB22_23
; %bb.20:
	v_add_u32_e32 v2, s20, v5
	v_lshlrev_b32_e32 v5, 12, v2
	s_mov_b32 s2, 0x7ed55d16
	v_add3_u32 v2, v2, v5, s2
	v_lshrrev_b32_e32 v5, 19, v2
	v_xor_b32_e32 v2, v2, v5
	v_xor_b32_e32 v2, 0xc761c23c, v2
	v_lshl_add_u32 v2, v2, 5, v2
	v_mov_b32_e32 v6, 0xaccf6200
	v_add_u32_e32 v5, 0xe9f8cc1d, v2
	v_lshl_add_u32 v2, v2, 9, v6
	v_xor_b32_e32 v2, v5, v2
	v_lshlrev_b32_e32 v5, 3, v2
	s_mov_b32 s2, 0xfd7046c5
	v_add3_u32 v2, v2, v5, s2
	v_xor_b32_sdwa v2, v2, v2 dst_sel:DWORD dst_unused:UNUSED_PAD src0_sel:DWORD src1_sel:WORD_1
	v_xor_b32_e32 v2, 0xb55a4f09, v2
	v_mul_hi_u32 v5, v2, 3
	s_brev_b32 s2, -2
	s_movk_i32 s8, 0x2710
	s_mov_b32 s9, 0xbc8f1391
	v_sub_u32_e32 v6, v2, v5
	v_lshrrev_b32_e32 v6, 1, v6
	v_add_u32_e32 v5, v6, v5
	v_lshrrev_b32_e32 v5, 30, v5
	v_mul_lo_u32 v6, v5, s2
	v_mov_b32_e32 v5, 0
	s_mov_b32 s18, 0xbc8f
	s_brev_b32 s19, 12
	v_sub_u32_e32 v2, v2, v6
	v_max_u32_e32 v6, 1, v2
	s_mov_b32 s23, 0xf800000
	v_mov_b32_e32 v2, 0x260
.LBB22_21:                              ; =>This Inner Loop Header: Depth=1
	v_mul_hi_u32 v7, v6, s9
	v_add_f32_e32 v8, 1.0, v5
	s_add_i32 s8, s8, -2
	s_cmp_lg_u32 s8, 0
	v_lshrrev_b32_e32 v7, 15, v7
	v_mul_u32_u24_e32 v9, 0xadc8, v7
	v_sub_u32_e32 v6, v6, v9
	v_mul_lo_u32 v6, v6, s18
	v_mul_u32_u24_e32 v7, 0xd47, v7
	v_xor_b32_e32 v9, 0x7fffffff, v7
	v_sub_u32_e32 v10, 0, v7
	v_cmp_lt_u32_e32 vcc, v6, v7
	v_cndmask_b32_e32 v7, v10, v9, vcc
	v_add_u32_e32 v6, v7, v6
	v_mul_hi_u32 v9, v6, s9
	v_add_u32_e32 v7, -1, v6
	v_cvt_f32_u32_e32 v7, v7
	v_lshrrev_b32_e32 v9, 15, v9
	v_mul_u32_u24_e32 v10, 0xadc8, v9
	v_sub_u32_e32 v6, v6, v10
	v_mul_lo_u32 v6, v6, s18
	v_mul_u32_u24_e32 v9, 0xd47, v9
	v_xor_b32_e32 v10, 0x7fffffff, v9
	v_sub_u32_e32 v11, 0, v9
	v_cmp_lt_u32_e32 vcc, v6, v9
	v_cndmask_b32_e32 v9, v11, v10, vcc
	v_add_u32_e32 v6, v9, v6
	v_mul_hi_u32 v10, v6, s9
	v_add_u32_e32 v9, -1, v6
	v_cvt_f32_u32_e32 v9, v9
	v_fma_f32 v7, v7, s19, 0
	v_lshrrev_b32_e32 v10, 15, v10
	v_mul_u32_u24_e32 v11, 0xadc8, v10
	v_fma_f32 v9, v9, s19, 0
	v_sub_u32_e32 v6, v6, v11
	v_mul_f32_e32 v9, v9, v9
	v_mul_lo_u32 v6, v6, s18
	v_fmac_f32_e32 v9, v7, v7
	v_mul_f32_e32 v7, 0x4f800000, v9
	v_cmp_gt_f32_e32 vcc, s23, v9
	v_mul_u32_u24_e32 v10, 0xd47, v10
	v_cndmask_b32_e32 v7, v9, v7, vcc
	v_xor_b32_e32 v11, 0x7fffffff, v10
	v_sub_u32_e32 v12, 0, v10
	v_sqrt_f32_e32 v9, v7
	v_cmp_lt_u32_e64 s[2:3], v6, v10
	v_cndmask_b32_e64 v10, v12, v11, s[2:3]
	v_add_u32_e32 v6, v10, v6
	v_mul_hi_u32 v11, v6, s9
	v_add_u32_e32 v12, -1, v9
	v_add_u32_e32 v13, 1, v9
	v_fma_f32 v14, -v12, v9, v7
	v_fma_f32 v15, -v13, v9, v7
	v_cmp_ge_f32_e64 s[2:3], 0, v14
	v_cndmask_b32_e64 v9, v9, v12, s[2:3]
	v_cmp_lt_f32_e64 s[2:3], 0, v15
	v_lshrrev_b32_e32 v11, 15, v11
	v_cndmask_b32_e64 v9, v9, v13, s[2:3]
	v_mul_u32_u24_e32 v13, 0xadc8, v11
	v_add_u32_e32 v10, -1, v6
	v_sub_u32_e32 v6, v6, v13
	v_mul_f32_e32 v12, 0x37800000, v9
	v_mul_lo_u32 v6, v6, s18
	v_cndmask_b32_e32 v9, v9, v12, vcc
	v_cmp_class_f32_e32 vcc, v7, v2
	v_cndmask_b32_e32 v7, v9, v7, vcc
	v_mul_u32_u24_e32 v11, 0xd47, v11
	v_cmp_nge_f32_e32 vcc, 1.0, v7
	v_xor_b32_e32 v12, 0x7fffffff, v11
	v_sub_u32_e32 v13, 0, v11
	v_cndmask_b32_e32 v5, v8, v5, vcc
	v_cmp_lt_u32_e32 vcc, v6, v11
	v_cndmask_b32_e32 v8, v13, v12, vcc
	v_add_u32_e32 v6, v8, v6
	v_add_u32_e32 v8, -1, v6
	v_cvt_f32_u32_e32 v8, v8
	v_cvt_f32_u32_e32 v10, v10
	v_add_f32_e32 v7, 1.0, v5
	v_fma_f32 v8, v8, s19, 0
	v_fma_f32 v10, v10, s19, 0
	v_mul_f32_e32 v8, v8, v8
	v_fmac_f32_e32 v8, v10, v10
	v_mul_f32_e32 v9, 0x4f800000, v8
	v_cmp_gt_f32_e32 vcc, s23, v8
	v_cndmask_b32_e32 v8, v8, v9, vcc
	v_sqrt_f32_e32 v9, v8
	v_add_u32_e32 v10, -1, v9
	v_add_u32_e32 v11, 1, v9
	v_fma_f32 v12, -v10, v9, v8
	v_fma_f32 v13, -v11, v9, v8
	v_cmp_ge_f32_e64 s[2:3], 0, v12
	v_cndmask_b32_e64 v9, v9, v10, s[2:3]
	v_cmp_lt_f32_e64 s[2:3], 0, v13
	v_cndmask_b32_e64 v9, v9, v11, s[2:3]
	v_mul_f32_e32 v10, 0x37800000, v9
	v_cndmask_b32_e32 v9, v9, v10, vcc
	v_cmp_class_f32_e32 vcc, v8, v2
	v_cndmask_b32_e32 v8, v9, v8, vcc
	v_cmp_nge_f32_e32 vcc, 1.0, v8
	v_cndmask_b32_e32 v5, v7, v5, vcc
	s_cbranch_scc1 .LBB22_21
; %bb.22:
	v_mul_f32_e32 v2, 4.0, v5
	s_mov_b32 s8, 0x461c4000
	v_div_scale_f32 v5, s[2:3], s8, s8, v2
	v_div_scale_f32 v6, vcc, v2, s8, v2
	v_rcp_f32_e32 v7, v5
	v_fma_f32 v8, -v5, v7, 1.0
	v_fmac_f32_e32 v7, v8, v7
	v_mul_f32_e32 v8, v6, v7
	v_fma_f32 v9, -v5, v8, v6
	v_fmac_f32_e32 v8, v9, v7
	v_fma_f32 v5, -v5, v8, v6
	v_div_fmas_f32 v5, v5, v7, v8
	v_div_fixup_f32 v2, v5, s8, v2
.LBB22_23:
	s_or_b64 exec, exec, s[4:5]
	v_or_b32_e32 v5, 0x200, v0
	v_cmp_gt_u32_e64 s[2:3], s22, v5
	s_and_saveexec_b64 s[8:9], s[2:3]
	s_cbranch_execz .LBB22_27
; %bb.24:
	v_add_u32_e32 v3, s20, v5
	v_lshlrev_b32_e32 v5, 12, v3
	s_mov_b32 s4, 0x7ed55d16
	v_add3_u32 v3, v3, v5, s4
	v_lshrrev_b32_e32 v5, 19, v3
	v_xor_b32_e32 v3, v3, v5
	v_xor_b32_e32 v3, 0xc761c23c, v3
	v_lshl_add_u32 v3, v3, 5, v3
	v_mov_b32_e32 v6, 0xaccf6200
	v_add_u32_e32 v5, 0xe9f8cc1d, v3
	v_lshl_add_u32 v3, v3, 9, v6
	v_xor_b32_e32 v3, v5, v3
	v_lshlrev_b32_e32 v5, 3, v3
	s_mov_b32 s4, 0xfd7046c5
	v_add3_u32 v3, v3, v5, s4
	v_xor_b32_sdwa v3, v3, v3 dst_sel:DWORD dst_unused:UNUSED_PAD src0_sel:DWORD src1_sel:WORD_1
	v_xor_b32_e32 v3, 0xb55a4f09, v3
	v_mul_hi_u32 v5, v3, 3
	s_brev_b32 s4, -2
	s_movk_i32 s18, 0x2710
	s_mov_b32 s19, 0xbc8f1391
	v_sub_u32_e32 v6, v3, v5
	v_lshrrev_b32_e32 v6, 1, v6
	v_add_u32_e32 v5, v6, v5
	v_lshrrev_b32_e32 v5, 30, v5
	v_mul_lo_u32 v6, v5, s4
	v_mov_b32_e32 v5, 0
	s_mov_b32 s23, 0xbc8f
	s_brev_b32 s24, 12
	v_sub_u32_e32 v3, v3, v6
	v_max_u32_e32 v6, 1, v3
	s_mov_b32 s25, 0xf800000
	v_mov_b32_e32 v3, 0x260
.LBB22_25:                              ; =>This Inner Loop Header: Depth=1
	v_mul_hi_u32 v7, v6, s19
	v_add_f32_e32 v8, 1.0, v5
	s_add_i32 s18, s18, -2
	s_cmp_lg_u32 s18, 0
	v_lshrrev_b32_e32 v7, 15, v7
	v_mul_u32_u24_e32 v9, 0xadc8, v7
	v_sub_u32_e32 v6, v6, v9
	v_mul_lo_u32 v6, v6, s23
	v_mul_u32_u24_e32 v7, 0xd47, v7
	v_xor_b32_e32 v9, 0x7fffffff, v7
	v_sub_u32_e32 v10, 0, v7
	v_cmp_lt_u32_e32 vcc, v6, v7
	v_cndmask_b32_e32 v7, v10, v9, vcc
	v_add_u32_e32 v6, v7, v6
	v_mul_hi_u32 v9, v6, s19
	v_add_u32_e32 v7, -1, v6
	v_cvt_f32_u32_e32 v7, v7
	v_lshrrev_b32_e32 v9, 15, v9
	v_mul_u32_u24_e32 v10, 0xadc8, v9
	v_sub_u32_e32 v6, v6, v10
	v_mul_lo_u32 v6, v6, s23
	v_mul_u32_u24_e32 v9, 0xd47, v9
	v_xor_b32_e32 v10, 0x7fffffff, v9
	v_sub_u32_e32 v11, 0, v9
	v_cmp_lt_u32_e32 vcc, v6, v9
	v_cndmask_b32_e32 v9, v11, v10, vcc
	v_add_u32_e32 v6, v9, v6
	v_mul_hi_u32 v10, v6, s19
	v_add_u32_e32 v9, -1, v6
	v_cvt_f32_u32_e32 v9, v9
	v_fma_f32 v7, v7, s24, 0
	v_lshrrev_b32_e32 v10, 15, v10
	v_mul_u32_u24_e32 v11, 0xadc8, v10
	v_fma_f32 v9, v9, s24, 0
	v_sub_u32_e32 v6, v6, v11
	v_mul_f32_e32 v9, v9, v9
	v_mul_lo_u32 v6, v6, s23
	v_fmac_f32_e32 v9, v7, v7
	v_mul_f32_e32 v7, 0x4f800000, v9
	v_cmp_gt_f32_e32 vcc, s25, v9
	v_mul_u32_u24_e32 v10, 0xd47, v10
	v_cndmask_b32_e32 v7, v9, v7, vcc
	v_xor_b32_e32 v11, 0x7fffffff, v10
	v_sub_u32_e32 v12, 0, v10
	v_sqrt_f32_e32 v9, v7
	v_cmp_lt_u32_e64 s[4:5], v6, v10
	v_cndmask_b32_e64 v10, v12, v11, s[4:5]
	v_add_u32_e32 v6, v10, v6
	v_mul_hi_u32 v11, v6, s19
	v_add_u32_e32 v12, -1, v9
	v_add_u32_e32 v13, 1, v9
	v_fma_f32 v14, -v12, v9, v7
	v_fma_f32 v15, -v13, v9, v7
	v_cmp_ge_f32_e64 s[4:5], 0, v14
	v_cndmask_b32_e64 v9, v9, v12, s[4:5]
	v_cmp_lt_f32_e64 s[4:5], 0, v15
	v_lshrrev_b32_e32 v11, 15, v11
	v_cndmask_b32_e64 v9, v9, v13, s[4:5]
	v_mul_u32_u24_e32 v13, 0xadc8, v11
	v_add_u32_e32 v10, -1, v6
	v_sub_u32_e32 v6, v6, v13
	v_mul_f32_e32 v12, 0x37800000, v9
	v_mul_lo_u32 v6, v6, s23
	v_cndmask_b32_e32 v9, v9, v12, vcc
	v_cmp_class_f32_e32 vcc, v7, v3
	v_cndmask_b32_e32 v7, v9, v7, vcc
	v_mul_u32_u24_e32 v11, 0xd47, v11
	v_cmp_nge_f32_e32 vcc, 1.0, v7
	v_xor_b32_e32 v12, 0x7fffffff, v11
	v_sub_u32_e32 v13, 0, v11
	v_cndmask_b32_e32 v5, v8, v5, vcc
	v_cmp_lt_u32_e32 vcc, v6, v11
	v_cndmask_b32_e32 v8, v13, v12, vcc
	v_add_u32_e32 v6, v8, v6
	v_add_u32_e32 v8, -1, v6
	v_cvt_f32_u32_e32 v8, v8
	v_cvt_f32_u32_e32 v10, v10
	v_add_f32_e32 v7, 1.0, v5
	v_fma_f32 v8, v8, s24, 0
	v_fma_f32 v10, v10, s24, 0
	v_mul_f32_e32 v8, v8, v8
	v_fmac_f32_e32 v8, v10, v10
	v_mul_f32_e32 v9, 0x4f800000, v8
	v_cmp_gt_f32_e32 vcc, s25, v8
	v_cndmask_b32_e32 v8, v8, v9, vcc
	v_sqrt_f32_e32 v9, v8
	v_add_u32_e32 v10, -1, v9
	v_add_u32_e32 v11, 1, v9
	v_fma_f32 v12, -v10, v9, v8
	v_fma_f32 v13, -v11, v9, v8
	v_cmp_ge_f32_e64 s[4:5], 0, v12
	v_cndmask_b32_e64 v9, v9, v10, s[4:5]
	v_cmp_lt_f32_e64 s[4:5], 0, v13
	v_cndmask_b32_e64 v9, v9, v11, s[4:5]
	v_mul_f32_e32 v10, 0x37800000, v9
	v_cndmask_b32_e32 v9, v9, v10, vcc
	v_cmp_class_f32_e32 vcc, v8, v3
	v_cndmask_b32_e32 v8, v9, v8, vcc
	v_cmp_nge_f32_e32 vcc, 1.0, v8
	v_cndmask_b32_e32 v5, v7, v5, vcc
	s_cbranch_scc1 .LBB22_25
; %bb.26:
	v_mul_f32_e32 v3, 4.0, v5
	s_mov_b32 s18, 0x461c4000
	v_div_scale_f32 v5, s[4:5], s18, s18, v3
	v_div_scale_f32 v6, vcc, v3, s18, v3
	v_rcp_f32_e32 v7, v5
	v_fma_f32 v8, -v5, v7, 1.0
	v_fmac_f32_e32 v7, v8, v7
	v_mul_f32_e32 v8, v6, v7
	v_fma_f32 v9, -v5, v8, v6
	v_fmac_f32_e32 v8, v9, v7
	v_fma_f32 v5, -v5, v8, v6
	v_div_fmas_f32 v5, v5, v7, v8
	v_div_fixup_f32 v3, v5, s18, v3
.LBB22_27:
	s_or_b64 exec, exec, s[8:9]
	v_or_b32_e32 v5, 0x300, v0
	v_cmp_gt_u32_e64 s[4:5], s22, v5
	s_and_saveexec_b64 s[18:19], s[4:5]
	s_cbranch_execz .LBB22_31
; %bb.28:
	v_add_u32_e32 v4, s20, v5
	v_lshlrev_b32_e32 v5, 12, v4
	s_mov_b32 s8, 0x7ed55d16
	v_add3_u32 v4, v4, v5, s8
	v_lshrrev_b32_e32 v5, 19, v4
	v_xor_b32_e32 v4, v4, v5
	v_xor_b32_e32 v4, 0xc761c23c, v4
	v_lshl_add_u32 v4, v4, 5, v4
	v_mov_b32_e32 v6, 0xaccf6200
	v_add_u32_e32 v5, 0xe9f8cc1d, v4
	v_lshl_add_u32 v4, v4, 9, v6
	v_xor_b32_e32 v4, v5, v4
	v_lshlrev_b32_e32 v5, 3, v4
	s_mov_b32 s8, 0xfd7046c5
	v_add3_u32 v4, v4, v5, s8
	v_xor_b32_sdwa v4, v4, v4 dst_sel:DWORD dst_unused:UNUSED_PAD src0_sel:DWORD src1_sel:WORD_1
	v_xor_b32_e32 v4, 0xb55a4f09, v4
	v_mul_hi_u32 v5, v4, 3
	s_brev_b32 s8, -2
	s_movk_i32 s20, 0x2710
	s_mov_b32 s23, 0xbc8f1391
	v_sub_u32_e32 v6, v4, v5
	v_lshrrev_b32_e32 v6, 1, v6
	v_add_u32_e32 v5, v6, v5
	v_lshrrev_b32_e32 v5, 30, v5
	v_mul_lo_u32 v6, v5, s8
	v_mov_b32_e32 v5, 0
	s_mov_b32 s24, 0xbc8f
	s_brev_b32 s25, 12
	v_sub_u32_e32 v4, v4, v6
	v_max_u32_e32 v6, 1, v4
	s_mov_b32 s26, 0xf800000
	v_mov_b32_e32 v4, 0x260
.LBB22_29:                              ; =>This Inner Loop Header: Depth=1
	v_mul_hi_u32 v7, v6, s23
	v_add_f32_e32 v8, 1.0, v5
	s_add_i32 s20, s20, -2
	s_cmp_lg_u32 s20, 0
	v_lshrrev_b32_e32 v7, 15, v7
	v_mul_u32_u24_e32 v9, 0xadc8, v7
	v_sub_u32_e32 v6, v6, v9
	v_mul_lo_u32 v6, v6, s24
	v_mul_u32_u24_e32 v7, 0xd47, v7
	v_xor_b32_e32 v9, 0x7fffffff, v7
	v_sub_u32_e32 v10, 0, v7
	v_cmp_lt_u32_e32 vcc, v6, v7
	v_cndmask_b32_e32 v7, v10, v9, vcc
	v_add_u32_e32 v6, v7, v6
	v_mul_hi_u32 v9, v6, s23
	v_add_u32_e32 v7, -1, v6
	v_cvt_f32_u32_e32 v7, v7
	v_lshrrev_b32_e32 v9, 15, v9
	v_mul_u32_u24_e32 v10, 0xadc8, v9
	v_sub_u32_e32 v6, v6, v10
	v_mul_lo_u32 v6, v6, s24
	v_mul_u32_u24_e32 v9, 0xd47, v9
	v_xor_b32_e32 v10, 0x7fffffff, v9
	v_sub_u32_e32 v11, 0, v9
	v_cmp_lt_u32_e32 vcc, v6, v9
	v_cndmask_b32_e32 v9, v11, v10, vcc
	v_add_u32_e32 v6, v9, v6
	v_mul_hi_u32 v10, v6, s23
	v_add_u32_e32 v9, -1, v6
	v_cvt_f32_u32_e32 v9, v9
	v_fma_f32 v7, v7, s25, 0
	v_lshrrev_b32_e32 v10, 15, v10
	v_mul_u32_u24_e32 v11, 0xadc8, v10
	v_fma_f32 v9, v9, s25, 0
	v_sub_u32_e32 v6, v6, v11
	v_mul_f32_e32 v9, v9, v9
	v_mul_lo_u32 v6, v6, s24
	v_fmac_f32_e32 v9, v7, v7
	v_mul_f32_e32 v7, 0x4f800000, v9
	v_cmp_gt_f32_e32 vcc, s26, v9
	v_mul_u32_u24_e32 v10, 0xd47, v10
	v_cndmask_b32_e32 v7, v9, v7, vcc
	v_xor_b32_e32 v11, 0x7fffffff, v10
	v_sub_u32_e32 v12, 0, v10
	v_sqrt_f32_e32 v9, v7
	v_cmp_lt_u32_e64 s[8:9], v6, v10
	v_cndmask_b32_e64 v10, v12, v11, s[8:9]
	v_add_u32_e32 v6, v10, v6
	v_mul_hi_u32 v11, v6, s23
	v_add_u32_e32 v12, -1, v9
	v_add_u32_e32 v13, 1, v9
	v_fma_f32 v14, -v12, v9, v7
	v_fma_f32 v15, -v13, v9, v7
	v_cmp_ge_f32_e64 s[8:9], 0, v14
	v_cndmask_b32_e64 v9, v9, v12, s[8:9]
	v_cmp_lt_f32_e64 s[8:9], 0, v15
	v_lshrrev_b32_e32 v11, 15, v11
	v_cndmask_b32_e64 v9, v9, v13, s[8:9]
	v_mul_u32_u24_e32 v13, 0xadc8, v11
	v_add_u32_e32 v10, -1, v6
	v_sub_u32_e32 v6, v6, v13
	v_mul_f32_e32 v12, 0x37800000, v9
	v_mul_lo_u32 v6, v6, s24
	v_cndmask_b32_e32 v9, v9, v12, vcc
	v_cmp_class_f32_e32 vcc, v7, v4
	v_cndmask_b32_e32 v7, v9, v7, vcc
	v_mul_u32_u24_e32 v11, 0xd47, v11
	v_cmp_nge_f32_e32 vcc, 1.0, v7
	v_xor_b32_e32 v12, 0x7fffffff, v11
	v_sub_u32_e32 v13, 0, v11
	v_cndmask_b32_e32 v5, v8, v5, vcc
	v_cmp_lt_u32_e32 vcc, v6, v11
	v_cndmask_b32_e32 v8, v13, v12, vcc
	v_add_u32_e32 v6, v8, v6
	v_add_u32_e32 v8, -1, v6
	v_cvt_f32_u32_e32 v8, v8
	v_cvt_f32_u32_e32 v10, v10
	v_add_f32_e32 v7, 1.0, v5
	v_fma_f32 v8, v8, s25, 0
	v_fma_f32 v10, v10, s25, 0
	v_mul_f32_e32 v8, v8, v8
	v_fmac_f32_e32 v8, v10, v10
	v_mul_f32_e32 v9, 0x4f800000, v8
	v_cmp_gt_f32_e32 vcc, s26, v8
	v_cndmask_b32_e32 v8, v8, v9, vcc
	v_sqrt_f32_e32 v9, v8
	v_add_u32_e32 v10, -1, v9
	v_add_u32_e32 v11, 1, v9
	v_fma_f32 v12, -v10, v9, v8
	v_fma_f32 v13, -v11, v9, v8
	v_cmp_ge_f32_e64 s[8:9], 0, v12
	v_cndmask_b32_e64 v9, v9, v10, s[8:9]
	v_cmp_lt_f32_e64 s[8:9], 0, v13
	v_cndmask_b32_e64 v9, v9, v11, s[8:9]
	v_mul_f32_e32 v10, 0x37800000, v9
	v_cndmask_b32_e32 v9, v9, v10, vcc
	v_cmp_class_f32_e32 vcc, v8, v4
	v_cndmask_b32_e32 v8, v9, v8, vcc
	v_cmp_nge_f32_e32 vcc, 1.0, v8
	v_cndmask_b32_e32 v5, v7, v5, vcc
	s_cbranch_scc1 .LBB22_29
; %bb.30:
	v_mul_f32_e32 v4, 4.0, v5
	s_mov_b32 s20, 0x461c4000
	v_div_scale_f32 v5, s[8:9], s20, s20, v4
	v_div_scale_f32 v6, vcc, v4, s20, v4
	v_rcp_f32_e32 v7, v5
	v_fma_f32 v8, -v5, v7, 1.0
	v_fmac_f32_e32 v7, v8, v7
	v_mul_f32_e32 v8, v6, v7
	v_fma_f32 v9, -v5, v8, v6
	v_fmac_f32_e32 v8, v9, v7
	v_fma_f32 v5, -v5, v8, v6
	v_div_fmas_f32 v5, v5, v7, v8
	v_div_fixup_f32 v4, v5, s20, v4
.LBB22_31:
	s_or_b64 exec, exec, s[18:19]
	v_add_f32_e32 v2, v1, v2
	v_cndmask_b32_e64 v1, v1, v2, s[0:1]
	v_add_f32_e32 v2, v3, v1
	v_cndmask_b32_e64 v1, v1, v2, s[2:3]
	;; [unrolled: 2-line block ×3, first 2 shown]
	v_mbcnt_lo_u32_b32 v2, -1, 0
	v_mbcnt_hi_u32_b32 v2, -1, v2
	v_and_b32_e32 v4, 63, v2
	v_cmp_ne_u32_e32 vcc, 63, v4
	v_addc_co_u32_e32 v3, vcc, 0, v2, vcc
	v_lshlrev_b32_e32 v3, 2, v3
	ds_bpermute_b32 v3, v3, v1
	s_min_u32 s4, s22, 0x100
	v_and_b32_e32 v5, 0xc0, v0
	v_sub_u32_e64 v5, s4, v5 clamp
	v_add_u32_e32 v6, 1, v4
	v_cmp_gt_u32_e64 s[0:1], 62, v4
	s_waitcnt lgkmcnt(0)
	v_add_f32_e32 v3, v1, v3
	v_cmp_lt_u32_e32 vcc, v6, v5
	v_cndmask_b32_e64 v6, 0, 2, s[0:1]
	v_cndmask_b32_e32 v3, v1, v3, vcc
	v_add_lshl_u32 v6, v6, v2, 2
	ds_bpermute_b32 v6, v6, v3
	v_add_u32_e32 v7, 2, v4
	v_cmp_lt_u32_e64 s[0:1], v7, v5
	v_add_u32_e32 v7, 4, v4
	s_waitcnt lgkmcnt(0)
	v_add_f32_e32 v6, v3, v6
	v_cndmask_b32_e64 v3, v3, v6, s[0:1]
	v_cmp_gt_u32_e64 s[0:1], 60, v4
	v_cndmask_b32_e64 v6, 0, 4, s[0:1]
	v_add_lshl_u32 v6, v6, v2, 2
	ds_bpermute_b32 v6, v6, v3
	v_cmp_lt_u32_e64 s[0:1], v7, v5
	v_add_u32_e32 v7, 8, v4
	s_waitcnt lgkmcnt(0)
	v_add_f32_e32 v6, v3, v6
	v_cndmask_b32_e64 v3, v3, v6, s[0:1]
	v_cmp_gt_u32_e64 s[0:1], 56, v4
	v_cndmask_b32_e64 v6, 0, 8, s[0:1]
	v_add_lshl_u32 v6, v6, v2, 2
	ds_bpermute_b32 v6, v6, v3
	;; [unrolled: 9-line block ×3, first 2 shown]
	v_cmp_lt_u32_e64 s[0:1], v7, v5
	v_add_u32_e32 v4, 32, v4
	s_waitcnt lgkmcnt(0)
	v_add_f32_e32 v6, v3, v6
	v_cndmask_b32_e64 v6, v3, v6, s[0:1]
	v_lshlrev_b32_e32 v3, 2, v2
	v_or_b32_e32 v7, 0x80, v3
	ds_bpermute_b32 v7, v7, v6
	v_cmp_lt_u32_e64 s[0:1], v4, v5
	s_waitcnt lgkmcnt(0)
	v_add_f32_e32 v7, v6, v7
	v_cndmask_b32_e64 v4, v6, v7, s[0:1]
	v_cndmask_b32_e32 v1, v1, v4, vcc
	v_cmp_eq_u32_e32 vcc, 0, v2
	s_and_saveexec_b64 s[0:1], vcc
; %bb.32:
	v_lshrrev_b32_e32 v4, 4, v0
	v_and_b32_e32 v4, 12, v4
	ds_write_b32 v4, v1 offset:16
; %bb.33:
	s_or_b64 exec, exec, s[0:1]
	v_cmp_gt_u32_e32 vcc, 4, v0
	s_waitcnt lgkmcnt(0)
	s_barrier
	s_and_saveexec_b64 s[2:3], vcc
	s_cbranch_execz .LBB22_35
; %bb.34:
	ds_read_b32 v1, v3 offset:16
	v_and_b32_e32 v4, 3, v2
	v_cmp_ne_u32_e32 vcc, 3, v4
	v_addc_co_u32_e32 v2, vcc, 0, v2, vcc
	v_lshlrev_b32_e32 v2, 2, v2
	s_waitcnt lgkmcnt(0)
	ds_bpermute_b32 v2, v2, v1
	s_add_i32 s4, s4, 63
	s_lshr_b32 s0, s4, 6
	v_add_u32_e32 v5, 1, v4
	v_cmp_gt_u32_e32 vcc, s0, v5
	s_waitcnt lgkmcnt(0)
	v_add_f32_e32 v2, v1, v2
	v_cndmask_b32_e32 v2, v1, v2, vcc
	v_or_b32_e32 v3, 8, v3
	ds_bpermute_b32 v3, v3, v2
	v_add_u32_e32 v4, 2, v4
	v_cmp_gt_u32_e64 s[0:1], s0, v4
	s_waitcnt lgkmcnt(0)
	v_add_f32_e32 v3, v2, v3
	v_cndmask_b32_e64 v2, v2, v3, s[0:1]
	v_cndmask_b32_e32 v1, v1, v2, vcc
.LBB22_35:
	s_or_b64 exec, exec, s[2:3]
.LBB22_36:
	v_cmp_eq_u32_e32 vcc, 0, v0
	s_and_saveexec_b64 s[0:1], vcc
	s_cbranch_execnz .LBB22_38
; %bb.37:
	s_endpgm
.LBB22_38:
	s_mul_i32 s0, s16, s15
	s_mul_hi_u32 s1, s16, s14
	s_add_i32 s0, s1, s0
	s_mul_i32 s1, s17, s14
	s_add_i32 s1, s0, s1
	s_mul_i32 s0, s16, s14
	s_lshl_b64 s[0:1], s[0:1], 2
	s_add_u32 s2, s12, s0
	s_addc_u32 s3, s13, s1
	s_cmp_eq_u64 s[10:11], 0
	s_cselect_b64 vcc, -1, 0
	s_lshl_b64 s[0:1], s[6:7], 2
	s_waitcnt lgkmcnt(0)
	v_mov_b32_e32 v0, s21
	s_add_u32 s0, s2, s0
	v_cndmask_b32_e32 v0, v1, v0, vcc
	s_addc_u32 s1, s3, s1
	v_mov_b32_e32 v1, 0
	global_store_dword v1, v0, s[0:1]
	s_endpgm
	.section	.rodata,"a",@progbits
	.p2align	6, 0x0
	.amdhsa_kernel _ZN7rocprim17ROCPRIM_400000_NS6detail17trampoline_kernelINS0_14default_configENS1_22reduce_config_selectorIfEEZNS1_11reduce_implILb1ES3_N6thrust23THRUST_200600_302600_NS11hip_rocprim26transform_input_iterator_tIfNS8_17counting_iteratorIiNS8_11use_defaultESC_SC_EE11estimate_piEEPffNS8_4plusIfEEEE10hipError_tPvRmT1_T2_T3_mT4_P12ihipStream_tbEUlT_E0_NS1_11comp_targetILNS1_3genE2ELNS1_11target_archE906ELNS1_3gpuE6ELNS1_3repE0EEENS1_30default_config_static_selectorELNS0_4arch9wavefront6targetE1EEEvSM_
		.amdhsa_group_segment_fixed_size 32
		.amdhsa_private_segment_fixed_size 0
		.amdhsa_kernarg_size 56
		.amdhsa_user_sgpr_count 6
		.amdhsa_user_sgpr_private_segment_buffer 1
		.amdhsa_user_sgpr_dispatch_ptr 0
		.amdhsa_user_sgpr_queue_ptr 0
		.amdhsa_user_sgpr_kernarg_segment_ptr 1
		.amdhsa_user_sgpr_dispatch_id 0
		.amdhsa_user_sgpr_flat_scratch_init 0
		.amdhsa_user_sgpr_private_segment_size 0
		.amdhsa_uses_dynamic_stack 0
		.amdhsa_system_sgpr_private_segment_wavefront_offset 0
		.amdhsa_system_sgpr_workgroup_id_x 1
		.amdhsa_system_sgpr_workgroup_id_y 0
		.amdhsa_system_sgpr_workgroup_id_z 0
		.amdhsa_system_sgpr_workgroup_info 0
		.amdhsa_system_vgpr_workitem_id 0
		.amdhsa_next_free_vgpr 16
		.amdhsa_next_free_sgpr 27
		.amdhsa_reserve_vcc 1
		.amdhsa_reserve_flat_scratch 0
		.amdhsa_float_round_mode_32 0
		.amdhsa_float_round_mode_16_64 0
		.amdhsa_float_denorm_mode_32 3
		.amdhsa_float_denorm_mode_16_64 3
		.amdhsa_dx10_clamp 1
		.amdhsa_ieee_mode 1
		.amdhsa_fp16_overflow 0
		.amdhsa_exception_fp_ieee_invalid_op 0
		.amdhsa_exception_fp_denorm_src 0
		.amdhsa_exception_fp_ieee_div_zero 0
		.amdhsa_exception_fp_ieee_overflow 0
		.amdhsa_exception_fp_ieee_underflow 0
		.amdhsa_exception_fp_ieee_inexact 0
		.amdhsa_exception_int_div_zero 0
	.end_amdhsa_kernel
	.section	.text._ZN7rocprim17ROCPRIM_400000_NS6detail17trampoline_kernelINS0_14default_configENS1_22reduce_config_selectorIfEEZNS1_11reduce_implILb1ES3_N6thrust23THRUST_200600_302600_NS11hip_rocprim26transform_input_iterator_tIfNS8_17counting_iteratorIiNS8_11use_defaultESC_SC_EE11estimate_piEEPffNS8_4plusIfEEEE10hipError_tPvRmT1_T2_T3_mT4_P12ihipStream_tbEUlT_E0_NS1_11comp_targetILNS1_3genE2ELNS1_11target_archE906ELNS1_3gpuE6ELNS1_3repE0EEENS1_30default_config_static_selectorELNS0_4arch9wavefront6targetE1EEEvSM_,"axG",@progbits,_ZN7rocprim17ROCPRIM_400000_NS6detail17trampoline_kernelINS0_14default_configENS1_22reduce_config_selectorIfEEZNS1_11reduce_implILb1ES3_N6thrust23THRUST_200600_302600_NS11hip_rocprim26transform_input_iterator_tIfNS8_17counting_iteratorIiNS8_11use_defaultESC_SC_EE11estimate_piEEPffNS8_4plusIfEEEE10hipError_tPvRmT1_T2_T3_mT4_P12ihipStream_tbEUlT_E0_NS1_11comp_targetILNS1_3genE2ELNS1_11target_archE906ELNS1_3gpuE6ELNS1_3repE0EEENS1_30default_config_static_selectorELNS0_4arch9wavefront6targetE1EEEvSM_,comdat
.Lfunc_end22:
	.size	_ZN7rocprim17ROCPRIM_400000_NS6detail17trampoline_kernelINS0_14default_configENS1_22reduce_config_selectorIfEEZNS1_11reduce_implILb1ES3_N6thrust23THRUST_200600_302600_NS11hip_rocprim26transform_input_iterator_tIfNS8_17counting_iteratorIiNS8_11use_defaultESC_SC_EE11estimate_piEEPffNS8_4plusIfEEEE10hipError_tPvRmT1_T2_T3_mT4_P12ihipStream_tbEUlT_E0_NS1_11comp_targetILNS1_3genE2ELNS1_11target_archE906ELNS1_3gpuE6ELNS1_3repE0EEENS1_30default_config_static_selectorELNS0_4arch9wavefront6targetE1EEEvSM_, .Lfunc_end22-_ZN7rocprim17ROCPRIM_400000_NS6detail17trampoline_kernelINS0_14default_configENS1_22reduce_config_selectorIfEEZNS1_11reduce_implILb1ES3_N6thrust23THRUST_200600_302600_NS11hip_rocprim26transform_input_iterator_tIfNS8_17counting_iteratorIiNS8_11use_defaultESC_SC_EE11estimate_piEEPffNS8_4plusIfEEEE10hipError_tPvRmT1_T2_T3_mT4_P12ihipStream_tbEUlT_E0_NS1_11comp_targetILNS1_3genE2ELNS1_11target_archE906ELNS1_3gpuE6ELNS1_3repE0EEENS1_30default_config_static_selectorELNS0_4arch9wavefront6targetE1EEEvSM_
                                        ; -- End function
	.set _ZN7rocprim17ROCPRIM_400000_NS6detail17trampoline_kernelINS0_14default_configENS1_22reduce_config_selectorIfEEZNS1_11reduce_implILb1ES3_N6thrust23THRUST_200600_302600_NS11hip_rocprim26transform_input_iterator_tIfNS8_17counting_iteratorIiNS8_11use_defaultESC_SC_EE11estimate_piEEPffNS8_4plusIfEEEE10hipError_tPvRmT1_T2_T3_mT4_P12ihipStream_tbEUlT_E0_NS1_11comp_targetILNS1_3genE2ELNS1_11target_archE906ELNS1_3gpuE6ELNS1_3repE0EEENS1_30default_config_static_selectorELNS0_4arch9wavefront6targetE1EEEvSM_.num_vgpr, 16
	.set _ZN7rocprim17ROCPRIM_400000_NS6detail17trampoline_kernelINS0_14default_configENS1_22reduce_config_selectorIfEEZNS1_11reduce_implILb1ES3_N6thrust23THRUST_200600_302600_NS11hip_rocprim26transform_input_iterator_tIfNS8_17counting_iteratorIiNS8_11use_defaultESC_SC_EE11estimate_piEEPffNS8_4plusIfEEEE10hipError_tPvRmT1_T2_T3_mT4_P12ihipStream_tbEUlT_E0_NS1_11comp_targetILNS1_3genE2ELNS1_11target_archE906ELNS1_3gpuE6ELNS1_3repE0EEENS1_30default_config_static_selectorELNS0_4arch9wavefront6targetE1EEEvSM_.num_agpr, 0
	.set _ZN7rocprim17ROCPRIM_400000_NS6detail17trampoline_kernelINS0_14default_configENS1_22reduce_config_selectorIfEEZNS1_11reduce_implILb1ES3_N6thrust23THRUST_200600_302600_NS11hip_rocprim26transform_input_iterator_tIfNS8_17counting_iteratorIiNS8_11use_defaultESC_SC_EE11estimate_piEEPffNS8_4plusIfEEEE10hipError_tPvRmT1_T2_T3_mT4_P12ihipStream_tbEUlT_E0_NS1_11comp_targetILNS1_3genE2ELNS1_11target_archE906ELNS1_3gpuE6ELNS1_3repE0EEENS1_30default_config_static_selectorELNS0_4arch9wavefront6targetE1EEEvSM_.numbered_sgpr, 27
	.set _ZN7rocprim17ROCPRIM_400000_NS6detail17trampoline_kernelINS0_14default_configENS1_22reduce_config_selectorIfEEZNS1_11reduce_implILb1ES3_N6thrust23THRUST_200600_302600_NS11hip_rocprim26transform_input_iterator_tIfNS8_17counting_iteratorIiNS8_11use_defaultESC_SC_EE11estimate_piEEPffNS8_4plusIfEEEE10hipError_tPvRmT1_T2_T3_mT4_P12ihipStream_tbEUlT_E0_NS1_11comp_targetILNS1_3genE2ELNS1_11target_archE906ELNS1_3gpuE6ELNS1_3repE0EEENS1_30default_config_static_selectorELNS0_4arch9wavefront6targetE1EEEvSM_.num_named_barrier, 0
	.set _ZN7rocprim17ROCPRIM_400000_NS6detail17trampoline_kernelINS0_14default_configENS1_22reduce_config_selectorIfEEZNS1_11reduce_implILb1ES3_N6thrust23THRUST_200600_302600_NS11hip_rocprim26transform_input_iterator_tIfNS8_17counting_iteratorIiNS8_11use_defaultESC_SC_EE11estimate_piEEPffNS8_4plusIfEEEE10hipError_tPvRmT1_T2_T3_mT4_P12ihipStream_tbEUlT_E0_NS1_11comp_targetILNS1_3genE2ELNS1_11target_archE906ELNS1_3gpuE6ELNS1_3repE0EEENS1_30default_config_static_selectorELNS0_4arch9wavefront6targetE1EEEvSM_.private_seg_size, 0
	.set _ZN7rocprim17ROCPRIM_400000_NS6detail17trampoline_kernelINS0_14default_configENS1_22reduce_config_selectorIfEEZNS1_11reduce_implILb1ES3_N6thrust23THRUST_200600_302600_NS11hip_rocprim26transform_input_iterator_tIfNS8_17counting_iteratorIiNS8_11use_defaultESC_SC_EE11estimate_piEEPffNS8_4plusIfEEEE10hipError_tPvRmT1_T2_T3_mT4_P12ihipStream_tbEUlT_E0_NS1_11comp_targetILNS1_3genE2ELNS1_11target_archE906ELNS1_3gpuE6ELNS1_3repE0EEENS1_30default_config_static_selectorELNS0_4arch9wavefront6targetE1EEEvSM_.uses_vcc, 1
	.set _ZN7rocprim17ROCPRIM_400000_NS6detail17trampoline_kernelINS0_14default_configENS1_22reduce_config_selectorIfEEZNS1_11reduce_implILb1ES3_N6thrust23THRUST_200600_302600_NS11hip_rocprim26transform_input_iterator_tIfNS8_17counting_iteratorIiNS8_11use_defaultESC_SC_EE11estimate_piEEPffNS8_4plusIfEEEE10hipError_tPvRmT1_T2_T3_mT4_P12ihipStream_tbEUlT_E0_NS1_11comp_targetILNS1_3genE2ELNS1_11target_archE906ELNS1_3gpuE6ELNS1_3repE0EEENS1_30default_config_static_selectorELNS0_4arch9wavefront6targetE1EEEvSM_.uses_flat_scratch, 0
	.set _ZN7rocprim17ROCPRIM_400000_NS6detail17trampoline_kernelINS0_14default_configENS1_22reduce_config_selectorIfEEZNS1_11reduce_implILb1ES3_N6thrust23THRUST_200600_302600_NS11hip_rocprim26transform_input_iterator_tIfNS8_17counting_iteratorIiNS8_11use_defaultESC_SC_EE11estimate_piEEPffNS8_4plusIfEEEE10hipError_tPvRmT1_T2_T3_mT4_P12ihipStream_tbEUlT_E0_NS1_11comp_targetILNS1_3genE2ELNS1_11target_archE906ELNS1_3gpuE6ELNS1_3repE0EEENS1_30default_config_static_selectorELNS0_4arch9wavefront6targetE1EEEvSM_.has_dyn_sized_stack, 0
	.set _ZN7rocprim17ROCPRIM_400000_NS6detail17trampoline_kernelINS0_14default_configENS1_22reduce_config_selectorIfEEZNS1_11reduce_implILb1ES3_N6thrust23THRUST_200600_302600_NS11hip_rocprim26transform_input_iterator_tIfNS8_17counting_iteratorIiNS8_11use_defaultESC_SC_EE11estimate_piEEPffNS8_4plusIfEEEE10hipError_tPvRmT1_T2_T3_mT4_P12ihipStream_tbEUlT_E0_NS1_11comp_targetILNS1_3genE2ELNS1_11target_archE906ELNS1_3gpuE6ELNS1_3repE0EEENS1_30default_config_static_selectorELNS0_4arch9wavefront6targetE1EEEvSM_.has_recursion, 0
	.set _ZN7rocprim17ROCPRIM_400000_NS6detail17trampoline_kernelINS0_14default_configENS1_22reduce_config_selectorIfEEZNS1_11reduce_implILb1ES3_N6thrust23THRUST_200600_302600_NS11hip_rocprim26transform_input_iterator_tIfNS8_17counting_iteratorIiNS8_11use_defaultESC_SC_EE11estimate_piEEPffNS8_4plusIfEEEE10hipError_tPvRmT1_T2_T3_mT4_P12ihipStream_tbEUlT_E0_NS1_11comp_targetILNS1_3genE2ELNS1_11target_archE906ELNS1_3gpuE6ELNS1_3repE0EEENS1_30default_config_static_selectorELNS0_4arch9wavefront6targetE1EEEvSM_.has_indirect_call, 0
	.section	.AMDGPU.csdata,"",@progbits
; Kernel info:
; codeLenInByte = 7920
; TotalNumSgprs: 31
; NumVgprs: 16
; ScratchSize: 0
; MemoryBound: 0
; FloatMode: 240
; IeeeMode: 1
; LDSByteSize: 32 bytes/workgroup (compile time only)
; SGPRBlocks: 3
; VGPRBlocks: 3
; NumSGPRsForWavesPerEU: 31
; NumVGPRsForWavesPerEU: 16
; Occupancy: 10
; WaveLimiterHint : 0
; COMPUTE_PGM_RSRC2:SCRATCH_EN: 0
; COMPUTE_PGM_RSRC2:USER_SGPR: 6
; COMPUTE_PGM_RSRC2:TRAP_HANDLER: 0
; COMPUTE_PGM_RSRC2:TGID_X_EN: 1
; COMPUTE_PGM_RSRC2:TGID_Y_EN: 0
; COMPUTE_PGM_RSRC2:TGID_Z_EN: 0
; COMPUTE_PGM_RSRC2:TIDIG_COMP_CNT: 0
	.section	.text._ZN7rocprim17ROCPRIM_400000_NS6detail17trampoline_kernelINS0_14default_configENS1_22reduce_config_selectorIfEEZNS1_11reduce_implILb1ES3_N6thrust23THRUST_200600_302600_NS11hip_rocprim26transform_input_iterator_tIfNS8_17counting_iteratorIiNS8_11use_defaultESC_SC_EE11estimate_piEEPffNS8_4plusIfEEEE10hipError_tPvRmT1_T2_T3_mT4_P12ihipStream_tbEUlT_E0_NS1_11comp_targetILNS1_3genE10ELNS1_11target_archE1201ELNS1_3gpuE5ELNS1_3repE0EEENS1_30default_config_static_selectorELNS0_4arch9wavefront6targetE1EEEvSM_,"axG",@progbits,_ZN7rocprim17ROCPRIM_400000_NS6detail17trampoline_kernelINS0_14default_configENS1_22reduce_config_selectorIfEEZNS1_11reduce_implILb1ES3_N6thrust23THRUST_200600_302600_NS11hip_rocprim26transform_input_iterator_tIfNS8_17counting_iteratorIiNS8_11use_defaultESC_SC_EE11estimate_piEEPffNS8_4plusIfEEEE10hipError_tPvRmT1_T2_T3_mT4_P12ihipStream_tbEUlT_E0_NS1_11comp_targetILNS1_3genE10ELNS1_11target_archE1201ELNS1_3gpuE5ELNS1_3repE0EEENS1_30default_config_static_selectorELNS0_4arch9wavefront6targetE1EEEvSM_,comdat
	.protected	_ZN7rocprim17ROCPRIM_400000_NS6detail17trampoline_kernelINS0_14default_configENS1_22reduce_config_selectorIfEEZNS1_11reduce_implILb1ES3_N6thrust23THRUST_200600_302600_NS11hip_rocprim26transform_input_iterator_tIfNS8_17counting_iteratorIiNS8_11use_defaultESC_SC_EE11estimate_piEEPffNS8_4plusIfEEEE10hipError_tPvRmT1_T2_T3_mT4_P12ihipStream_tbEUlT_E0_NS1_11comp_targetILNS1_3genE10ELNS1_11target_archE1201ELNS1_3gpuE5ELNS1_3repE0EEENS1_30default_config_static_selectorELNS0_4arch9wavefront6targetE1EEEvSM_ ; -- Begin function _ZN7rocprim17ROCPRIM_400000_NS6detail17trampoline_kernelINS0_14default_configENS1_22reduce_config_selectorIfEEZNS1_11reduce_implILb1ES3_N6thrust23THRUST_200600_302600_NS11hip_rocprim26transform_input_iterator_tIfNS8_17counting_iteratorIiNS8_11use_defaultESC_SC_EE11estimate_piEEPffNS8_4plusIfEEEE10hipError_tPvRmT1_T2_T3_mT4_P12ihipStream_tbEUlT_E0_NS1_11comp_targetILNS1_3genE10ELNS1_11target_archE1201ELNS1_3gpuE5ELNS1_3repE0EEENS1_30default_config_static_selectorELNS0_4arch9wavefront6targetE1EEEvSM_
	.globl	_ZN7rocprim17ROCPRIM_400000_NS6detail17trampoline_kernelINS0_14default_configENS1_22reduce_config_selectorIfEEZNS1_11reduce_implILb1ES3_N6thrust23THRUST_200600_302600_NS11hip_rocprim26transform_input_iterator_tIfNS8_17counting_iteratorIiNS8_11use_defaultESC_SC_EE11estimate_piEEPffNS8_4plusIfEEEE10hipError_tPvRmT1_T2_T3_mT4_P12ihipStream_tbEUlT_E0_NS1_11comp_targetILNS1_3genE10ELNS1_11target_archE1201ELNS1_3gpuE5ELNS1_3repE0EEENS1_30default_config_static_selectorELNS0_4arch9wavefront6targetE1EEEvSM_
	.p2align	8
	.type	_ZN7rocprim17ROCPRIM_400000_NS6detail17trampoline_kernelINS0_14default_configENS1_22reduce_config_selectorIfEEZNS1_11reduce_implILb1ES3_N6thrust23THRUST_200600_302600_NS11hip_rocprim26transform_input_iterator_tIfNS8_17counting_iteratorIiNS8_11use_defaultESC_SC_EE11estimate_piEEPffNS8_4plusIfEEEE10hipError_tPvRmT1_T2_T3_mT4_P12ihipStream_tbEUlT_E0_NS1_11comp_targetILNS1_3genE10ELNS1_11target_archE1201ELNS1_3gpuE5ELNS1_3repE0EEENS1_30default_config_static_selectorELNS0_4arch9wavefront6targetE1EEEvSM_,@function
_ZN7rocprim17ROCPRIM_400000_NS6detail17trampoline_kernelINS0_14default_configENS1_22reduce_config_selectorIfEEZNS1_11reduce_implILb1ES3_N6thrust23THRUST_200600_302600_NS11hip_rocprim26transform_input_iterator_tIfNS8_17counting_iteratorIiNS8_11use_defaultESC_SC_EE11estimate_piEEPffNS8_4plusIfEEEE10hipError_tPvRmT1_T2_T3_mT4_P12ihipStream_tbEUlT_E0_NS1_11comp_targetILNS1_3genE10ELNS1_11target_archE1201ELNS1_3gpuE5ELNS1_3repE0EEENS1_30default_config_static_selectorELNS0_4arch9wavefront6targetE1EEEvSM_: ; @_ZN7rocprim17ROCPRIM_400000_NS6detail17trampoline_kernelINS0_14default_configENS1_22reduce_config_selectorIfEEZNS1_11reduce_implILb1ES3_N6thrust23THRUST_200600_302600_NS11hip_rocprim26transform_input_iterator_tIfNS8_17counting_iteratorIiNS8_11use_defaultESC_SC_EE11estimate_piEEPffNS8_4plusIfEEEE10hipError_tPvRmT1_T2_T3_mT4_P12ihipStream_tbEUlT_E0_NS1_11comp_targetILNS1_3genE10ELNS1_11target_archE1201ELNS1_3gpuE5ELNS1_3repE0EEENS1_30default_config_static_selectorELNS0_4arch9wavefront6targetE1EEEvSM_
; %bb.0:
	.section	.rodata,"a",@progbits
	.p2align	6, 0x0
	.amdhsa_kernel _ZN7rocprim17ROCPRIM_400000_NS6detail17trampoline_kernelINS0_14default_configENS1_22reduce_config_selectorIfEEZNS1_11reduce_implILb1ES3_N6thrust23THRUST_200600_302600_NS11hip_rocprim26transform_input_iterator_tIfNS8_17counting_iteratorIiNS8_11use_defaultESC_SC_EE11estimate_piEEPffNS8_4plusIfEEEE10hipError_tPvRmT1_T2_T3_mT4_P12ihipStream_tbEUlT_E0_NS1_11comp_targetILNS1_3genE10ELNS1_11target_archE1201ELNS1_3gpuE5ELNS1_3repE0EEENS1_30default_config_static_selectorELNS0_4arch9wavefront6targetE1EEEvSM_
		.amdhsa_group_segment_fixed_size 0
		.amdhsa_private_segment_fixed_size 0
		.amdhsa_kernarg_size 56
		.amdhsa_user_sgpr_count 6
		.amdhsa_user_sgpr_private_segment_buffer 1
		.amdhsa_user_sgpr_dispatch_ptr 0
		.amdhsa_user_sgpr_queue_ptr 0
		.amdhsa_user_sgpr_kernarg_segment_ptr 1
		.amdhsa_user_sgpr_dispatch_id 0
		.amdhsa_user_sgpr_flat_scratch_init 0
		.amdhsa_user_sgpr_private_segment_size 0
		.amdhsa_uses_dynamic_stack 0
		.amdhsa_system_sgpr_private_segment_wavefront_offset 0
		.amdhsa_system_sgpr_workgroup_id_x 1
		.amdhsa_system_sgpr_workgroup_id_y 0
		.amdhsa_system_sgpr_workgroup_id_z 0
		.amdhsa_system_sgpr_workgroup_info 0
		.amdhsa_system_vgpr_workitem_id 0
		.amdhsa_next_free_vgpr 1
		.amdhsa_next_free_sgpr 0
		.amdhsa_reserve_vcc 0
		.amdhsa_reserve_flat_scratch 0
		.amdhsa_float_round_mode_32 0
		.amdhsa_float_round_mode_16_64 0
		.amdhsa_float_denorm_mode_32 3
		.amdhsa_float_denorm_mode_16_64 3
		.amdhsa_dx10_clamp 1
		.amdhsa_ieee_mode 1
		.amdhsa_fp16_overflow 0
		.amdhsa_exception_fp_ieee_invalid_op 0
		.amdhsa_exception_fp_denorm_src 0
		.amdhsa_exception_fp_ieee_div_zero 0
		.amdhsa_exception_fp_ieee_overflow 0
		.amdhsa_exception_fp_ieee_underflow 0
		.amdhsa_exception_fp_ieee_inexact 0
		.amdhsa_exception_int_div_zero 0
	.end_amdhsa_kernel
	.section	.text._ZN7rocprim17ROCPRIM_400000_NS6detail17trampoline_kernelINS0_14default_configENS1_22reduce_config_selectorIfEEZNS1_11reduce_implILb1ES3_N6thrust23THRUST_200600_302600_NS11hip_rocprim26transform_input_iterator_tIfNS8_17counting_iteratorIiNS8_11use_defaultESC_SC_EE11estimate_piEEPffNS8_4plusIfEEEE10hipError_tPvRmT1_T2_T3_mT4_P12ihipStream_tbEUlT_E0_NS1_11comp_targetILNS1_3genE10ELNS1_11target_archE1201ELNS1_3gpuE5ELNS1_3repE0EEENS1_30default_config_static_selectorELNS0_4arch9wavefront6targetE1EEEvSM_,"axG",@progbits,_ZN7rocprim17ROCPRIM_400000_NS6detail17trampoline_kernelINS0_14default_configENS1_22reduce_config_selectorIfEEZNS1_11reduce_implILb1ES3_N6thrust23THRUST_200600_302600_NS11hip_rocprim26transform_input_iterator_tIfNS8_17counting_iteratorIiNS8_11use_defaultESC_SC_EE11estimate_piEEPffNS8_4plusIfEEEE10hipError_tPvRmT1_T2_T3_mT4_P12ihipStream_tbEUlT_E0_NS1_11comp_targetILNS1_3genE10ELNS1_11target_archE1201ELNS1_3gpuE5ELNS1_3repE0EEENS1_30default_config_static_selectorELNS0_4arch9wavefront6targetE1EEEvSM_,comdat
.Lfunc_end23:
	.size	_ZN7rocprim17ROCPRIM_400000_NS6detail17trampoline_kernelINS0_14default_configENS1_22reduce_config_selectorIfEEZNS1_11reduce_implILb1ES3_N6thrust23THRUST_200600_302600_NS11hip_rocprim26transform_input_iterator_tIfNS8_17counting_iteratorIiNS8_11use_defaultESC_SC_EE11estimate_piEEPffNS8_4plusIfEEEE10hipError_tPvRmT1_T2_T3_mT4_P12ihipStream_tbEUlT_E0_NS1_11comp_targetILNS1_3genE10ELNS1_11target_archE1201ELNS1_3gpuE5ELNS1_3repE0EEENS1_30default_config_static_selectorELNS0_4arch9wavefront6targetE1EEEvSM_, .Lfunc_end23-_ZN7rocprim17ROCPRIM_400000_NS6detail17trampoline_kernelINS0_14default_configENS1_22reduce_config_selectorIfEEZNS1_11reduce_implILb1ES3_N6thrust23THRUST_200600_302600_NS11hip_rocprim26transform_input_iterator_tIfNS8_17counting_iteratorIiNS8_11use_defaultESC_SC_EE11estimate_piEEPffNS8_4plusIfEEEE10hipError_tPvRmT1_T2_T3_mT4_P12ihipStream_tbEUlT_E0_NS1_11comp_targetILNS1_3genE10ELNS1_11target_archE1201ELNS1_3gpuE5ELNS1_3repE0EEENS1_30default_config_static_selectorELNS0_4arch9wavefront6targetE1EEEvSM_
                                        ; -- End function
	.set _ZN7rocprim17ROCPRIM_400000_NS6detail17trampoline_kernelINS0_14default_configENS1_22reduce_config_selectorIfEEZNS1_11reduce_implILb1ES3_N6thrust23THRUST_200600_302600_NS11hip_rocprim26transform_input_iterator_tIfNS8_17counting_iteratorIiNS8_11use_defaultESC_SC_EE11estimate_piEEPffNS8_4plusIfEEEE10hipError_tPvRmT1_T2_T3_mT4_P12ihipStream_tbEUlT_E0_NS1_11comp_targetILNS1_3genE10ELNS1_11target_archE1201ELNS1_3gpuE5ELNS1_3repE0EEENS1_30default_config_static_selectorELNS0_4arch9wavefront6targetE1EEEvSM_.num_vgpr, 0
	.set _ZN7rocprim17ROCPRIM_400000_NS6detail17trampoline_kernelINS0_14default_configENS1_22reduce_config_selectorIfEEZNS1_11reduce_implILb1ES3_N6thrust23THRUST_200600_302600_NS11hip_rocprim26transform_input_iterator_tIfNS8_17counting_iteratorIiNS8_11use_defaultESC_SC_EE11estimate_piEEPffNS8_4plusIfEEEE10hipError_tPvRmT1_T2_T3_mT4_P12ihipStream_tbEUlT_E0_NS1_11comp_targetILNS1_3genE10ELNS1_11target_archE1201ELNS1_3gpuE5ELNS1_3repE0EEENS1_30default_config_static_selectorELNS0_4arch9wavefront6targetE1EEEvSM_.num_agpr, 0
	.set _ZN7rocprim17ROCPRIM_400000_NS6detail17trampoline_kernelINS0_14default_configENS1_22reduce_config_selectorIfEEZNS1_11reduce_implILb1ES3_N6thrust23THRUST_200600_302600_NS11hip_rocprim26transform_input_iterator_tIfNS8_17counting_iteratorIiNS8_11use_defaultESC_SC_EE11estimate_piEEPffNS8_4plusIfEEEE10hipError_tPvRmT1_T2_T3_mT4_P12ihipStream_tbEUlT_E0_NS1_11comp_targetILNS1_3genE10ELNS1_11target_archE1201ELNS1_3gpuE5ELNS1_3repE0EEENS1_30default_config_static_selectorELNS0_4arch9wavefront6targetE1EEEvSM_.numbered_sgpr, 0
	.set _ZN7rocprim17ROCPRIM_400000_NS6detail17trampoline_kernelINS0_14default_configENS1_22reduce_config_selectorIfEEZNS1_11reduce_implILb1ES3_N6thrust23THRUST_200600_302600_NS11hip_rocprim26transform_input_iterator_tIfNS8_17counting_iteratorIiNS8_11use_defaultESC_SC_EE11estimate_piEEPffNS8_4plusIfEEEE10hipError_tPvRmT1_T2_T3_mT4_P12ihipStream_tbEUlT_E0_NS1_11comp_targetILNS1_3genE10ELNS1_11target_archE1201ELNS1_3gpuE5ELNS1_3repE0EEENS1_30default_config_static_selectorELNS0_4arch9wavefront6targetE1EEEvSM_.num_named_barrier, 0
	.set _ZN7rocprim17ROCPRIM_400000_NS6detail17trampoline_kernelINS0_14default_configENS1_22reduce_config_selectorIfEEZNS1_11reduce_implILb1ES3_N6thrust23THRUST_200600_302600_NS11hip_rocprim26transform_input_iterator_tIfNS8_17counting_iteratorIiNS8_11use_defaultESC_SC_EE11estimate_piEEPffNS8_4plusIfEEEE10hipError_tPvRmT1_T2_T3_mT4_P12ihipStream_tbEUlT_E0_NS1_11comp_targetILNS1_3genE10ELNS1_11target_archE1201ELNS1_3gpuE5ELNS1_3repE0EEENS1_30default_config_static_selectorELNS0_4arch9wavefront6targetE1EEEvSM_.private_seg_size, 0
	.set _ZN7rocprim17ROCPRIM_400000_NS6detail17trampoline_kernelINS0_14default_configENS1_22reduce_config_selectorIfEEZNS1_11reduce_implILb1ES3_N6thrust23THRUST_200600_302600_NS11hip_rocprim26transform_input_iterator_tIfNS8_17counting_iteratorIiNS8_11use_defaultESC_SC_EE11estimate_piEEPffNS8_4plusIfEEEE10hipError_tPvRmT1_T2_T3_mT4_P12ihipStream_tbEUlT_E0_NS1_11comp_targetILNS1_3genE10ELNS1_11target_archE1201ELNS1_3gpuE5ELNS1_3repE0EEENS1_30default_config_static_selectorELNS0_4arch9wavefront6targetE1EEEvSM_.uses_vcc, 0
	.set _ZN7rocprim17ROCPRIM_400000_NS6detail17trampoline_kernelINS0_14default_configENS1_22reduce_config_selectorIfEEZNS1_11reduce_implILb1ES3_N6thrust23THRUST_200600_302600_NS11hip_rocprim26transform_input_iterator_tIfNS8_17counting_iteratorIiNS8_11use_defaultESC_SC_EE11estimate_piEEPffNS8_4plusIfEEEE10hipError_tPvRmT1_T2_T3_mT4_P12ihipStream_tbEUlT_E0_NS1_11comp_targetILNS1_3genE10ELNS1_11target_archE1201ELNS1_3gpuE5ELNS1_3repE0EEENS1_30default_config_static_selectorELNS0_4arch9wavefront6targetE1EEEvSM_.uses_flat_scratch, 0
	.set _ZN7rocprim17ROCPRIM_400000_NS6detail17trampoline_kernelINS0_14default_configENS1_22reduce_config_selectorIfEEZNS1_11reduce_implILb1ES3_N6thrust23THRUST_200600_302600_NS11hip_rocprim26transform_input_iterator_tIfNS8_17counting_iteratorIiNS8_11use_defaultESC_SC_EE11estimate_piEEPffNS8_4plusIfEEEE10hipError_tPvRmT1_T2_T3_mT4_P12ihipStream_tbEUlT_E0_NS1_11comp_targetILNS1_3genE10ELNS1_11target_archE1201ELNS1_3gpuE5ELNS1_3repE0EEENS1_30default_config_static_selectorELNS0_4arch9wavefront6targetE1EEEvSM_.has_dyn_sized_stack, 0
	.set _ZN7rocprim17ROCPRIM_400000_NS6detail17trampoline_kernelINS0_14default_configENS1_22reduce_config_selectorIfEEZNS1_11reduce_implILb1ES3_N6thrust23THRUST_200600_302600_NS11hip_rocprim26transform_input_iterator_tIfNS8_17counting_iteratorIiNS8_11use_defaultESC_SC_EE11estimate_piEEPffNS8_4plusIfEEEE10hipError_tPvRmT1_T2_T3_mT4_P12ihipStream_tbEUlT_E0_NS1_11comp_targetILNS1_3genE10ELNS1_11target_archE1201ELNS1_3gpuE5ELNS1_3repE0EEENS1_30default_config_static_selectorELNS0_4arch9wavefront6targetE1EEEvSM_.has_recursion, 0
	.set _ZN7rocprim17ROCPRIM_400000_NS6detail17trampoline_kernelINS0_14default_configENS1_22reduce_config_selectorIfEEZNS1_11reduce_implILb1ES3_N6thrust23THRUST_200600_302600_NS11hip_rocprim26transform_input_iterator_tIfNS8_17counting_iteratorIiNS8_11use_defaultESC_SC_EE11estimate_piEEPffNS8_4plusIfEEEE10hipError_tPvRmT1_T2_T3_mT4_P12ihipStream_tbEUlT_E0_NS1_11comp_targetILNS1_3genE10ELNS1_11target_archE1201ELNS1_3gpuE5ELNS1_3repE0EEENS1_30default_config_static_selectorELNS0_4arch9wavefront6targetE1EEEvSM_.has_indirect_call, 0
	.section	.AMDGPU.csdata,"",@progbits
; Kernel info:
; codeLenInByte = 0
; TotalNumSgprs: 4
; NumVgprs: 0
; ScratchSize: 0
; MemoryBound: 0
; FloatMode: 240
; IeeeMode: 1
; LDSByteSize: 0 bytes/workgroup (compile time only)
; SGPRBlocks: 0
; VGPRBlocks: 0
; NumSGPRsForWavesPerEU: 4
; NumVGPRsForWavesPerEU: 1
; Occupancy: 10
; WaveLimiterHint : 0
; COMPUTE_PGM_RSRC2:SCRATCH_EN: 0
; COMPUTE_PGM_RSRC2:USER_SGPR: 6
; COMPUTE_PGM_RSRC2:TRAP_HANDLER: 0
; COMPUTE_PGM_RSRC2:TGID_X_EN: 1
; COMPUTE_PGM_RSRC2:TGID_Y_EN: 0
; COMPUTE_PGM_RSRC2:TGID_Z_EN: 0
; COMPUTE_PGM_RSRC2:TIDIG_COMP_CNT: 0
	.section	.text._ZN7rocprim17ROCPRIM_400000_NS6detail17trampoline_kernelINS0_14default_configENS1_22reduce_config_selectorIfEEZNS1_11reduce_implILb1ES3_N6thrust23THRUST_200600_302600_NS11hip_rocprim26transform_input_iterator_tIfNS8_17counting_iteratorIiNS8_11use_defaultESC_SC_EE11estimate_piEEPffNS8_4plusIfEEEE10hipError_tPvRmT1_T2_T3_mT4_P12ihipStream_tbEUlT_E0_NS1_11comp_targetILNS1_3genE10ELNS1_11target_archE1200ELNS1_3gpuE4ELNS1_3repE0EEENS1_30default_config_static_selectorELNS0_4arch9wavefront6targetE1EEEvSM_,"axG",@progbits,_ZN7rocprim17ROCPRIM_400000_NS6detail17trampoline_kernelINS0_14default_configENS1_22reduce_config_selectorIfEEZNS1_11reduce_implILb1ES3_N6thrust23THRUST_200600_302600_NS11hip_rocprim26transform_input_iterator_tIfNS8_17counting_iteratorIiNS8_11use_defaultESC_SC_EE11estimate_piEEPffNS8_4plusIfEEEE10hipError_tPvRmT1_T2_T3_mT4_P12ihipStream_tbEUlT_E0_NS1_11comp_targetILNS1_3genE10ELNS1_11target_archE1200ELNS1_3gpuE4ELNS1_3repE0EEENS1_30default_config_static_selectorELNS0_4arch9wavefront6targetE1EEEvSM_,comdat
	.protected	_ZN7rocprim17ROCPRIM_400000_NS6detail17trampoline_kernelINS0_14default_configENS1_22reduce_config_selectorIfEEZNS1_11reduce_implILb1ES3_N6thrust23THRUST_200600_302600_NS11hip_rocprim26transform_input_iterator_tIfNS8_17counting_iteratorIiNS8_11use_defaultESC_SC_EE11estimate_piEEPffNS8_4plusIfEEEE10hipError_tPvRmT1_T2_T3_mT4_P12ihipStream_tbEUlT_E0_NS1_11comp_targetILNS1_3genE10ELNS1_11target_archE1200ELNS1_3gpuE4ELNS1_3repE0EEENS1_30default_config_static_selectorELNS0_4arch9wavefront6targetE1EEEvSM_ ; -- Begin function _ZN7rocprim17ROCPRIM_400000_NS6detail17trampoline_kernelINS0_14default_configENS1_22reduce_config_selectorIfEEZNS1_11reduce_implILb1ES3_N6thrust23THRUST_200600_302600_NS11hip_rocprim26transform_input_iterator_tIfNS8_17counting_iteratorIiNS8_11use_defaultESC_SC_EE11estimate_piEEPffNS8_4plusIfEEEE10hipError_tPvRmT1_T2_T3_mT4_P12ihipStream_tbEUlT_E0_NS1_11comp_targetILNS1_3genE10ELNS1_11target_archE1200ELNS1_3gpuE4ELNS1_3repE0EEENS1_30default_config_static_selectorELNS0_4arch9wavefront6targetE1EEEvSM_
	.globl	_ZN7rocprim17ROCPRIM_400000_NS6detail17trampoline_kernelINS0_14default_configENS1_22reduce_config_selectorIfEEZNS1_11reduce_implILb1ES3_N6thrust23THRUST_200600_302600_NS11hip_rocprim26transform_input_iterator_tIfNS8_17counting_iteratorIiNS8_11use_defaultESC_SC_EE11estimate_piEEPffNS8_4plusIfEEEE10hipError_tPvRmT1_T2_T3_mT4_P12ihipStream_tbEUlT_E0_NS1_11comp_targetILNS1_3genE10ELNS1_11target_archE1200ELNS1_3gpuE4ELNS1_3repE0EEENS1_30default_config_static_selectorELNS0_4arch9wavefront6targetE1EEEvSM_
	.p2align	8
	.type	_ZN7rocprim17ROCPRIM_400000_NS6detail17trampoline_kernelINS0_14default_configENS1_22reduce_config_selectorIfEEZNS1_11reduce_implILb1ES3_N6thrust23THRUST_200600_302600_NS11hip_rocprim26transform_input_iterator_tIfNS8_17counting_iteratorIiNS8_11use_defaultESC_SC_EE11estimate_piEEPffNS8_4plusIfEEEE10hipError_tPvRmT1_T2_T3_mT4_P12ihipStream_tbEUlT_E0_NS1_11comp_targetILNS1_3genE10ELNS1_11target_archE1200ELNS1_3gpuE4ELNS1_3repE0EEENS1_30default_config_static_selectorELNS0_4arch9wavefront6targetE1EEEvSM_,@function
_ZN7rocprim17ROCPRIM_400000_NS6detail17trampoline_kernelINS0_14default_configENS1_22reduce_config_selectorIfEEZNS1_11reduce_implILb1ES3_N6thrust23THRUST_200600_302600_NS11hip_rocprim26transform_input_iterator_tIfNS8_17counting_iteratorIiNS8_11use_defaultESC_SC_EE11estimate_piEEPffNS8_4plusIfEEEE10hipError_tPvRmT1_T2_T3_mT4_P12ihipStream_tbEUlT_E0_NS1_11comp_targetILNS1_3genE10ELNS1_11target_archE1200ELNS1_3gpuE4ELNS1_3repE0EEENS1_30default_config_static_selectorELNS0_4arch9wavefront6targetE1EEEvSM_: ; @_ZN7rocprim17ROCPRIM_400000_NS6detail17trampoline_kernelINS0_14default_configENS1_22reduce_config_selectorIfEEZNS1_11reduce_implILb1ES3_N6thrust23THRUST_200600_302600_NS11hip_rocprim26transform_input_iterator_tIfNS8_17counting_iteratorIiNS8_11use_defaultESC_SC_EE11estimate_piEEPffNS8_4plusIfEEEE10hipError_tPvRmT1_T2_T3_mT4_P12ihipStream_tbEUlT_E0_NS1_11comp_targetILNS1_3genE10ELNS1_11target_archE1200ELNS1_3gpuE4ELNS1_3repE0EEENS1_30default_config_static_selectorELNS0_4arch9wavefront6targetE1EEEvSM_
; %bb.0:
	.section	.rodata,"a",@progbits
	.p2align	6, 0x0
	.amdhsa_kernel _ZN7rocprim17ROCPRIM_400000_NS6detail17trampoline_kernelINS0_14default_configENS1_22reduce_config_selectorIfEEZNS1_11reduce_implILb1ES3_N6thrust23THRUST_200600_302600_NS11hip_rocprim26transform_input_iterator_tIfNS8_17counting_iteratorIiNS8_11use_defaultESC_SC_EE11estimate_piEEPffNS8_4plusIfEEEE10hipError_tPvRmT1_T2_T3_mT4_P12ihipStream_tbEUlT_E0_NS1_11comp_targetILNS1_3genE10ELNS1_11target_archE1200ELNS1_3gpuE4ELNS1_3repE0EEENS1_30default_config_static_selectorELNS0_4arch9wavefront6targetE1EEEvSM_
		.amdhsa_group_segment_fixed_size 0
		.amdhsa_private_segment_fixed_size 0
		.amdhsa_kernarg_size 56
		.amdhsa_user_sgpr_count 6
		.amdhsa_user_sgpr_private_segment_buffer 1
		.amdhsa_user_sgpr_dispatch_ptr 0
		.amdhsa_user_sgpr_queue_ptr 0
		.amdhsa_user_sgpr_kernarg_segment_ptr 1
		.amdhsa_user_sgpr_dispatch_id 0
		.amdhsa_user_sgpr_flat_scratch_init 0
		.amdhsa_user_sgpr_private_segment_size 0
		.amdhsa_uses_dynamic_stack 0
		.amdhsa_system_sgpr_private_segment_wavefront_offset 0
		.amdhsa_system_sgpr_workgroup_id_x 1
		.amdhsa_system_sgpr_workgroup_id_y 0
		.amdhsa_system_sgpr_workgroup_id_z 0
		.amdhsa_system_sgpr_workgroup_info 0
		.amdhsa_system_vgpr_workitem_id 0
		.amdhsa_next_free_vgpr 1
		.amdhsa_next_free_sgpr 0
		.amdhsa_reserve_vcc 0
		.amdhsa_reserve_flat_scratch 0
		.amdhsa_float_round_mode_32 0
		.amdhsa_float_round_mode_16_64 0
		.amdhsa_float_denorm_mode_32 3
		.amdhsa_float_denorm_mode_16_64 3
		.amdhsa_dx10_clamp 1
		.amdhsa_ieee_mode 1
		.amdhsa_fp16_overflow 0
		.amdhsa_exception_fp_ieee_invalid_op 0
		.amdhsa_exception_fp_denorm_src 0
		.amdhsa_exception_fp_ieee_div_zero 0
		.amdhsa_exception_fp_ieee_overflow 0
		.amdhsa_exception_fp_ieee_underflow 0
		.amdhsa_exception_fp_ieee_inexact 0
		.amdhsa_exception_int_div_zero 0
	.end_amdhsa_kernel
	.section	.text._ZN7rocprim17ROCPRIM_400000_NS6detail17trampoline_kernelINS0_14default_configENS1_22reduce_config_selectorIfEEZNS1_11reduce_implILb1ES3_N6thrust23THRUST_200600_302600_NS11hip_rocprim26transform_input_iterator_tIfNS8_17counting_iteratorIiNS8_11use_defaultESC_SC_EE11estimate_piEEPffNS8_4plusIfEEEE10hipError_tPvRmT1_T2_T3_mT4_P12ihipStream_tbEUlT_E0_NS1_11comp_targetILNS1_3genE10ELNS1_11target_archE1200ELNS1_3gpuE4ELNS1_3repE0EEENS1_30default_config_static_selectorELNS0_4arch9wavefront6targetE1EEEvSM_,"axG",@progbits,_ZN7rocprim17ROCPRIM_400000_NS6detail17trampoline_kernelINS0_14default_configENS1_22reduce_config_selectorIfEEZNS1_11reduce_implILb1ES3_N6thrust23THRUST_200600_302600_NS11hip_rocprim26transform_input_iterator_tIfNS8_17counting_iteratorIiNS8_11use_defaultESC_SC_EE11estimate_piEEPffNS8_4plusIfEEEE10hipError_tPvRmT1_T2_T3_mT4_P12ihipStream_tbEUlT_E0_NS1_11comp_targetILNS1_3genE10ELNS1_11target_archE1200ELNS1_3gpuE4ELNS1_3repE0EEENS1_30default_config_static_selectorELNS0_4arch9wavefront6targetE1EEEvSM_,comdat
.Lfunc_end24:
	.size	_ZN7rocprim17ROCPRIM_400000_NS6detail17trampoline_kernelINS0_14default_configENS1_22reduce_config_selectorIfEEZNS1_11reduce_implILb1ES3_N6thrust23THRUST_200600_302600_NS11hip_rocprim26transform_input_iterator_tIfNS8_17counting_iteratorIiNS8_11use_defaultESC_SC_EE11estimate_piEEPffNS8_4plusIfEEEE10hipError_tPvRmT1_T2_T3_mT4_P12ihipStream_tbEUlT_E0_NS1_11comp_targetILNS1_3genE10ELNS1_11target_archE1200ELNS1_3gpuE4ELNS1_3repE0EEENS1_30default_config_static_selectorELNS0_4arch9wavefront6targetE1EEEvSM_, .Lfunc_end24-_ZN7rocprim17ROCPRIM_400000_NS6detail17trampoline_kernelINS0_14default_configENS1_22reduce_config_selectorIfEEZNS1_11reduce_implILb1ES3_N6thrust23THRUST_200600_302600_NS11hip_rocprim26transform_input_iterator_tIfNS8_17counting_iteratorIiNS8_11use_defaultESC_SC_EE11estimate_piEEPffNS8_4plusIfEEEE10hipError_tPvRmT1_T2_T3_mT4_P12ihipStream_tbEUlT_E0_NS1_11comp_targetILNS1_3genE10ELNS1_11target_archE1200ELNS1_3gpuE4ELNS1_3repE0EEENS1_30default_config_static_selectorELNS0_4arch9wavefront6targetE1EEEvSM_
                                        ; -- End function
	.set _ZN7rocprim17ROCPRIM_400000_NS6detail17trampoline_kernelINS0_14default_configENS1_22reduce_config_selectorIfEEZNS1_11reduce_implILb1ES3_N6thrust23THRUST_200600_302600_NS11hip_rocprim26transform_input_iterator_tIfNS8_17counting_iteratorIiNS8_11use_defaultESC_SC_EE11estimate_piEEPffNS8_4plusIfEEEE10hipError_tPvRmT1_T2_T3_mT4_P12ihipStream_tbEUlT_E0_NS1_11comp_targetILNS1_3genE10ELNS1_11target_archE1200ELNS1_3gpuE4ELNS1_3repE0EEENS1_30default_config_static_selectorELNS0_4arch9wavefront6targetE1EEEvSM_.num_vgpr, 0
	.set _ZN7rocprim17ROCPRIM_400000_NS6detail17trampoline_kernelINS0_14default_configENS1_22reduce_config_selectorIfEEZNS1_11reduce_implILb1ES3_N6thrust23THRUST_200600_302600_NS11hip_rocprim26transform_input_iterator_tIfNS8_17counting_iteratorIiNS8_11use_defaultESC_SC_EE11estimate_piEEPffNS8_4plusIfEEEE10hipError_tPvRmT1_T2_T3_mT4_P12ihipStream_tbEUlT_E0_NS1_11comp_targetILNS1_3genE10ELNS1_11target_archE1200ELNS1_3gpuE4ELNS1_3repE0EEENS1_30default_config_static_selectorELNS0_4arch9wavefront6targetE1EEEvSM_.num_agpr, 0
	.set _ZN7rocprim17ROCPRIM_400000_NS6detail17trampoline_kernelINS0_14default_configENS1_22reduce_config_selectorIfEEZNS1_11reduce_implILb1ES3_N6thrust23THRUST_200600_302600_NS11hip_rocprim26transform_input_iterator_tIfNS8_17counting_iteratorIiNS8_11use_defaultESC_SC_EE11estimate_piEEPffNS8_4plusIfEEEE10hipError_tPvRmT1_T2_T3_mT4_P12ihipStream_tbEUlT_E0_NS1_11comp_targetILNS1_3genE10ELNS1_11target_archE1200ELNS1_3gpuE4ELNS1_3repE0EEENS1_30default_config_static_selectorELNS0_4arch9wavefront6targetE1EEEvSM_.numbered_sgpr, 0
	.set _ZN7rocprim17ROCPRIM_400000_NS6detail17trampoline_kernelINS0_14default_configENS1_22reduce_config_selectorIfEEZNS1_11reduce_implILb1ES3_N6thrust23THRUST_200600_302600_NS11hip_rocprim26transform_input_iterator_tIfNS8_17counting_iteratorIiNS8_11use_defaultESC_SC_EE11estimate_piEEPffNS8_4plusIfEEEE10hipError_tPvRmT1_T2_T3_mT4_P12ihipStream_tbEUlT_E0_NS1_11comp_targetILNS1_3genE10ELNS1_11target_archE1200ELNS1_3gpuE4ELNS1_3repE0EEENS1_30default_config_static_selectorELNS0_4arch9wavefront6targetE1EEEvSM_.num_named_barrier, 0
	.set _ZN7rocprim17ROCPRIM_400000_NS6detail17trampoline_kernelINS0_14default_configENS1_22reduce_config_selectorIfEEZNS1_11reduce_implILb1ES3_N6thrust23THRUST_200600_302600_NS11hip_rocprim26transform_input_iterator_tIfNS8_17counting_iteratorIiNS8_11use_defaultESC_SC_EE11estimate_piEEPffNS8_4plusIfEEEE10hipError_tPvRmT1_T2_T3_mT4_P12ihipStream_tbEUlT_E0_NS1_11comp_targetILNS1_3genE10ELNS1_11target_archE1200ELNS1_3gpuE4ELNS1_3repE0EEENS1_30default_config_static_selectorELNS0_4arch9wavefront6targetE1EEEvSM_.private_seg_size, 0
	.set _ZN7rocprim17ROCPRIM_400000_NS6detail17trampoline_kernelINS0_14default_configENS1_22reduce_config_selectorIfEEZNS1_11reduce_implILb1ES3_N6thrust23THRUST_200600_302600_NS11hip_rocprim26transform_input_iterator_tIfNS8_17counting_iteratorIiNS8_11use_defaultESC_SC_EE11estimate_piEEPffNS8_4plusIfEEEE10hipError_tPvRmT1_T2_T3_mT4_P12ihipStream_tbEUlT_E0_NS1_11comp_targetILNS1_3genE10ELNS1_11target_archE1200ELNS1_3gpuE4ELNS1_3repE0EEENS1_30default_config_static_selectorELNS0_4arch9wavefront6targetE1EEEvSM_.uses_vcc, 0
	.set _ZN7rocprim17ROCPRIM_400000_NS6detail17trampoline_kernelINS0_14default_configENS1_22reduce_config_selectorIfEEZNS1_11reduce_implILb1ES3_N6thrust23THRUST_200600_302600_NS11hip_rocprim26transform_input_iterator_tIfNS8_17counting_iteratorIiNS8_11use_defaultESC_SC_EE11estimate_piEEPffNS8_4plusIfEEEE10hipError_tPvRmT1_T2_T3_mT4_P12ihipStream_tbEUlT_E0_NS1_11comp_targetILNS1_3genE10ELNS1_11target_archE1200ELNS1_3gpuE4ELNS1_3repE0EEENS1_30default_config_static_selectorELNS0_4arch9wavefront6targetE1EEEvSM_.uses_flat_scratch, 0
	.set _ZN7rocprim17ROCPRIM_400000_NS6detail17trampoline_kernelINS0_14default_configENS1_22reduce_config_selectorIfEEZNS1_11reduce_implILb1ES3_N6thrust23THRUST_200600_302600_NS11hip_rocprim26transform_input_iterator_tIfNS8_17counting_iteratorIiNS8_11use_defaultESC_SC_EE11estimate_piEEPffNS8_4plusIfEEEE10hipError_tPvRmT1_T2_T3_mT4_P12ihipStream_tbEUlT_E0_NS1_11comp_targetILNS1_3genE10ELNS1_11target_archE1200ELNS1_3gpuE4ELNS1_3repE0EEENS1_30default_config_static_selectorELNS0_4arch9wavefront6targetE1EEEvSM_.has_dyn_sized_stack, 0
	.set _ZN7rocprim17ROCPRIM_400000_NS6detail17trampoline_kernelINS0_14default_configENS1_22reduce_config_selectorIfEEZNS1_11reduce_implILb1ES3_N6thrust23THRUST_200600_302600_NS11hip_rocprim26transform_input_iterator_tIfNS8_17counting_iteratorIiNS8_11use_defaultESC_SC_EE11estimate_piEEPffNS8_4plusIfEEEE10hipError_tPvRmT1_T2_T3_mT4_P12ihipStream_tbEUlT_E0_NS1_11comp_targetILNS1_3genE10ELNS1_11target_archE1200ELNS1_3gpuE4ELNS1_3repE0EEENS1_30default_config_static_selectorELNS0_4arch9wavefront6targetE1EEEvSM_.has_recursion, 0
	.set _ZN7rocprim17ROCPRIM_400000_NS6detail17trampoline_kernelINS0_14default_configENS1_22reduce_config_selectorIfEEZNS1_11reduce_implILb1ES3_N6thrust23THRUST_200600_302600_NS11hip_rocprim26transform_input_iterator_tIfNS8_17counting_iteratorIiNS8_11use_defaultESC_SC_EE11estimate_piEEPffNS8_4plusIfEEEE10hipError_tPvRmT1_T2_T3_mT4_P12ihipStream_tbEUlT_E0_NS1_11comp_targetILNS1_3genE10ELNS1_11target_archE1200ELNS1_3gpuE4ELNS1_3repE0EEENS1_30default_config_static_selectorELNS0_4arch9wavefront6targetE1EEEvSM_.has_indirect_call, 0
	.section	.AMDGPU.csdata,"",@progbits
; Kernel info:
; codeLenInByte = 0
; TotalNumSgprs: 4
; NumVgprs: 0
; ScratchSize: 0
; MemoryBound: 0
; FloatMode: 240
; IeeeMode: 1
; LDSByteSize: 0 bytes/workgroup (compile time only)
; SGPRBlocks: 0
; VGPRBlocks: 0
; NumSGPRsForWavesPerEU: 4
; NumVGPRsForWavesPerEU: 1
; Occupancy: 10
; WaveLimiterHint : 0
; COMPUTE_PGM_RSRC2:SCRATCH_EN: 0
; COMPUTE_PGM_RSRC2:USER_SGPR: 6
; COMPUTE_PGM_RSRC2:TRAP_HANDLER: 0
; COMPUTE_PGM_RSRC2:TGID_X_EN: 1
; COMPUTE_PGM_RSRC2:TGID_Y_EN: 0
; COMPUTE_PGM_RSRC2:TGID_Z_EN: 0
; COMPUTE_PGM_RSRC2:TIDIG_COMP_CNT: 0
	.section	.text._ZN7rocprim17ROCPRIM_400000_NS6detail17trampoline_kernelINS0_14default_configENS1_22reduce_config_selectorIfEEZNS1_11reduce_implILb1ES3_N6thrust23THRUST_200600_302600_NS11hip_rocprim26transform_input_iterator_tIfNS8_17counting_iteratorIiNS8_11use_defaultESC_SC_EE11estimate_piEEPffNS8_4plusIfEEEE10hipError_tPvRmT1_T2_T3_mT4_P12ihipStream_tbEUlT_E0_NS1_11comp_targetILNS1_3genE9ELNS1_11target_archE1100ELNS1_3gpuE3ELNS1_3repE0EEENS1_30default_config_static_selectorELNS0_4arch9wavefront6targetE1EEEvSM_,"axG",@progbits,_ZN7rocprim17ROCPRIM_400000_NS6detail17trampoline_kernelINS0_14default_configENS1_22reduce_config_selectorIfEEZNS1_11reduce_implILb1ES3_N6thrust23THRUST_200600_302600_NS11hip_rocprim26transform_input_iterator_tIfNS8_17counting_iteratorIiNS8_11use_defaultESC_SC_EE11estimate_piEEPffNS8_4plusIfEEEE10hipError_tPvRmT1_T2_T3_mT4_P12ihipStream_tbEUlT_E0_NS1_11comp_targetILNS1_3genE9ELNS1_11target_archE1100ELNS1_3gpuE3ELNS1_3repE0EEENS1_30default_config_static_selectorELNS0_4arch9wavefront6targetE1EEEvSM_,comdat
	.protected	_ZN7rocprim17ROCPRIM_400000_NS6detail17trampoline_kernelINS0_14default_configENS1_22reduce_config_selectorIfEEZNS1_11reduce_implILb1ES3_N6thrust23THRUST_200600_302600_NS11hip_rocprim26transform_input_iterator_tIfNS8_17counting_iteratorIiNS8_11use_defaultESC_SC_EE11estimate_piEEPffNS8_4plusIfEEEE10hipError_tPvRmT1_T2_T3_mT4_P12ihipStream_tbEUlT_E0_NS1_11comp_targetILNS1_3genE9ELNS1_11target_archE1100ELNS1_3gpuE3ELNS1_3repE0EEENS1_30default_config_static_selectorELNS0_4arch9wavefront6targetE1EEEvSM_ ; -- Begin function _ZN7rocprim17ROCPRIM_400000_NS6detail17trampoline_kernelINS0_14default_configENS1_22reduce_config_selectorIfEEZNS1_11reduce_implILb1ES3_N6thrust23THRUST_200600_302600_NS11hip_rocprim26transform_input_iterator_tIfNS8_17counting_iteratorIiNS8_11use_defaultESC_SC_EE11estimate_piEEPffNS8_4plusIfEEEE10hipError_tPvRmT1_T2_T3_mT4_P12ihipStream_tbEUlT_E0_NS1_11comp_targetILNS1_3genE9ELNS1_11target_archE1100ELNS1_3gpuE3ELNS1_3repE0EEENS1_30default_config_static_selectorELNS0_4arch9wavefront6targetE1EEEvSM_
	.globl	_ZN7rocprim17ROCPRIM_400000_NS6detail17trampoline_kernelINS0_14default_configENS1_22reduce_config_selectorIfEEZNS1_11reduce_implILb1ES3_N6thrust23THRUST_200600_302600_NS11hip_rocprim26transform_input_iterator_tIfNS8_17counting_iteratorIiNS8_11use_defaultESC_SC_EE11estimate_piEEPffNS8_4plusIfEEEE10hipError_tPvRmT1_T2_T3_mT4_P12ihipStream_tbEUlT_E0_NS1_11comp_targetILNS1_3genE9ELNS1_11target_archE1100ELNS1_3gpuE3ELNS1_3repE0EEENS1_30default_config_static_selectorELNS0_4arch9wavefront6targetE1EEEvSM_
	.p2align	8
	.type	_ZN7rocprim17ROCPRIM_400000_NS6detail17trampoline_kernelINS0_14default_configENS1_22reduce_config_selectorIfEEZNS1_11reduce_implILb1ES3_N6thrust23THRUST_200600_302600_NS11hip_rocprim26transform_input_iterator_tIfNS8_17counting_iteratorIiNS8_11use_defaultESC_SC_EE11estimate_piEEPffNS8_4plusIfEEEE10hipError_tPvRmT1_T2_T3_mT4_P12ihipStream_tbEUlT_E0_NS1_11comp_targetILNS1_3genE9ELNS1_11target_archE1100ELNS1_3gpuE3ELNS1_3repE0EEENS1_30default_config_static_selectorELNS0_4arch9wavefront6targetE1EEEvSM_,@function
_ZN7rocprim17ROCPRIM_400000_NS6detail17trampoline_kernelINS0_14default_configENS1_22reduce_config_selectorIfEEZNS1_11reduce_implILb1ES3_N6thrust23THRUST_200600_302600_NS11hip_rocprim26transform_input_iterator_tIfNS8_17counting_iteratorIiNS8_11use_defaultESC_SC_EE11estimate_piEEPffNS8_4plusIfEEEE10hipError_tPvRmT1_T2_T3_mT4_P12ihipStream_tbEUlT_E0_NS1_11comp_targetILNS1_3genE9ELNS1_11target_archE1100ELNS1_3gpuE3ELNS1_3repE0EEENS1_30default_config_static_selectorELNS0_4arch9wavefront6targetE1EEEvSM_: ; @_ZN7rocprim17ROCPRIM_400000_NS6detail17trampoline_kernelINS0_14default_configENS1_22reduce_config_selectorIfEEZNS1_11reduce_implILb1ES3_N6thrust23THRUST_200600_302600_NS11hip_rocprim26transform_input_iterator_tIfNS8_17counting_iteratorIiNS8_11use_defaultESC_SC_EE11estimate_piEEPffNS8_4plusIfEEEE10hipError_tPvRmT1_T2_T3_mT4_P12ihipStream_tbEUlT_E0_NS1_11comp_targetILNS1_3genE9ELNS1_11target_archE1100ELNS1_3gpuE3ELNS1_3repE0EEENS1_30default_config_static_selectorELNS0_4arch9wavefront6targetE1EEEvSM_
; %bb.0:
	.section	.rodata,"a",@progbits
	.p2align	6, 0x0
	.amdhsa_kernel _ZN7rocprim17ROCPRIM_400000_NS6detail17trampoline_kernelINS0_14default_configENS1_22reduce_config_selectorIfEEZNS1_11reduce_implILb1ES3_N6thrust23THRUST_200600_302600_NS11hip_rocprim26transform_input_iterator_tIfNS8_17counting_iteratorIiNS8_11use_defaultESC_SC_EE11estimate_piEEPffNS8_4plusIfEEEE10hipError_tPvRmT1_T2_T3_mT4_P12ihipStream_tbEUlT_E0_NS1_11comp_targetILNS1_3genE9ELNS1_11target_archE1100ELNS1_3gpuE3ELNS1_3repE0EEENS1_30default_config_static_selectorELNS0_4arch9wavefront6targetE1EEEvSM_
		.amdhsa_group_segment_fixed_size 0
		.amdhsa_private_segment_fixed_size 0
		.amdhsa_kernarg_size 56
		.amdhsa_user_sgpr_count 6
		.amdhsa_user_sgpr_private_segment_buffer 1
		.amdhsa_user_sgpr_dispatch_ptr 0
		.amdhsa_user_sgpr_queue_ptr 0
		.amdhsa_user_sgpr_kernarg_segment_ptr 1
		.amdhsa_user_sgpr_dispatch_id 0
		.amdhsa_user_sgpr_flat_scratch_init 0
		.amdhsa_user_sgpr_private_segment_size 0
		.amdhsa_uses_dynamic_stack 0
		.amdhsa_system_sgpr_private_segment_wavefront_offset 0
		.amdhsa_system_sgpr_workgroup_id_x 1
		.amdhsa_system_sgpr_workgroup_id_y 0
		.amdhsa_system_sgpr_workgroup_id_z 0
		.amdhsa_system_sgpr_workgroup_info 0
		.amdhsa_system_vgpr_workitem_id 0
		.amdhsa_next_free_vgpr 1
		.amdhsa_next_free_sgpr 0
		.amdhsa_reserve_vcc 0
		.amdhsa_reserve_flat_scratch 0
		.amdhsa_float_round_mode_32 0
		.amdhsa_float_round_mode_16_64 0
		.amdhsa_float_denorm_mode_32 3
		.amdhsa_float_denorm_mode_16_64 3
		.amdhsa_dx10_clamp 1
		.amdhsa_ieee_mode 1
		.amdhsa_fp16_overflow 0
		.amdhsa_exception_fp_ieee_invalid_op 0
		.amdhsa_exception_fp_denorm_src 0
		.amdhsa_exception_fp_ieee_div_zero 0
		.amdhsa_exception_fp_ieee_overflow 0
		.amdhsa_exception_fp_ieee_underflow 0
		.amdhsa_exception_fp_ieee_inexact 0
		.amdhsa_exception_int_div_zero 0
	.end_amdhsa_kernel
	.section	.text._ZN7rocprim17ROCPRIM_400000_NS6detail17trampoline_kernelINS0_14default_configENS1_22reduce_config_selectorIfEEZNS1_11reduce_implILb1ES3_N6thrust23THRUST_200600_302600_NS11hip_rocprim26transform_input_iterator_tIfNS8_17counting_iteratorIiNS8_11use_defaultESC_SC_EE11estimate_piEEPffNS8_4plusIfEEEE10hipError_tPvRmT1_T2_T3_mT4_P12ihipStream_tbEUlT_E0_NS1_11comp_targetILNS1_3genE9ELNS1_11target_archE1100ELNS1_3gpuE3ELNS1_3repE0EEENS1_30default_config_static_selectorELNS0_4arch9wavefront6targetE1EEEvSM_,"axG",@progbits,_ZN7rocprim17ROCPRIM_400000_NS6detail17trampoline_kernelINS0_14default_configENS1_22reduce_config_selectorIfEEZNS1_11reduce_implILb1ES3_N6thrust23THRUST_200600_302600_NS11hip_rocprim26transform_input_iterator_tIfNS8_17counting_iteratorIiNS8_11use_defaultESC_SC_EE11estimate_piEEPffNS8_4plusIfEEEE10hipError_tPvRmT1_T2_T3_mT4_P12ihipStream_tbEUlT_E0_NS1_11comp_targetILNS1_3genE9ELNS1_11target_archE1100ELNS1_3gpuE3ELNS1_3repE0EEENS1_30default_config_static_selectorELNS0_4arch9wavefront6targetE1EEEvSM_,comdat
.Lfunc_end25:
	.size	_ZN7rocprim17ROCPRIM_400000_NS6detail17trampoline_kernelINS0_14default_configENS1_22reduce_config_selectorIfEEZNS1_11reduce_implILb1ES3_N6thrust23THRUST_200600_302600_NS11hip_rocprim26transform_input_iterator_tIfNS8_17counting_iteratorIiNS8_11use_defaultESC_SC_EE11estimate_piEEPffNS8_4plusIfEEEE10hipError_tPvRmT1_T2_T3_mT4_P12ihipStream_tbEUlT_E0_NS1_11comp_targetILNS1_3genE9ELNS1_11target_archE1100ELNS1_3gpuE3ELNS1_3repE0EEENS1_30default_config_static_selectorELNS0_4arch9wavefront6targetE1EEEvSM_, .Lfunc_end25-_ZN7rocprim17ROCPRIM_400000_NS6detail17trampoline_kernelINS0_14default_configENS1_22reduce_config_selectorIfEEZNS1_11reduce_implILb1ES3_N6thrust23THRUST_200600_302600_NS11hip_rocprim26transform_input_iterator_tIfNS8_17counting_iteratorIiNS8_11use_defaultESC_SC_EE11estimate_piEEPffNS8_4plusIfEEEE10hipError_tPvRmT1_T2_T3_mT4_P12ihipStream_tbEUlT_E0_NS1_11comp_targetILNS1_3genE9ELNS1_11target_archE1100ELNS1_3gpuE3ELNS1_3repE0EEENS1_30default_config_static_selectorELNS0_4arch9wavefront6targetE1EEEvSM_
                                        ; -- End function
	.set _ZN7rocprim17ROCPRIM_400000_NS6detail17trampoline_kernelINS0_14default_configENS1_22reduce_config_selectorIfEEZNS1_11reduce_implILb1ES3_N6thrust23THRUST_200600_302600_NS11hip_rocprim26transform_input_iterator_tIfNS8_17counting_iteratorIiNS8_11use_defaultESC_SC_EE11estimate_piEEPffNS8_4plusIfEEEE10hipError_tPvRmT1_T2_T3_mT4_P12ihipStream_tbEUlT_E0_NS1_11comp_targetILNS1_3genE9ELNS1_11target_archE1100ELNS1_3gpuE3ELNS1_3repE0EEENS1_30default_config_static_selectorELNS0_4arch9wavefront6targetE1EEEvSM_.num_vgpr, 0
	.set _ZN7rocprim17ROCPRIM_400000_NS6detail17trampoline_kernelINS0_14default_configENS1_22reduce_config_selectorIfEEZNS1_11reduce_implILb1ES3_N6thrust23THRUST_200600_302600_NS11hip_rocprim26transform_input_iterator_tIfNS8_17counting_iteratorIiNS8_11use_defaultESC_SC_EE11estimate_piEEPffNS8_4plusIfEEEE10hipError_tPvRmT1_T2_T3_mT4_P12ihipStream_tbEUlT_E0_NS1_11comp_targetILNS1_3genE9ELNS1_11target_archE1100ELNS1_3gpuE3ELNS1_3repE0EEENS1_30default_config_static_selectorELNS0_4arch9wavefront6targetE1EEEvSM_.num_agpr, 0
	.set _ZN7rocprim17ROCPRIM_400000_NS6detail17trampoline_kernelINS0_14default_configENS1_22reduce_config_selectorIfEEZNS1_11reduce_implILb1ES3_N6thrust23THRUST_200600_302600_NS11hip_rocprim26transform_input_iterator_tIfNS8_17counting_iteratorIiNS8_11use_defaultESC_SC_EE11estimate_piEEPffNS8_4plusIfEEEE10hipError_tPvRmT1_T2_T3_mT4_P12ihipStream_tbEUlT_E0_NS1_11comp_targetILNS1_3genE9ELNS1_11target_archE1100ELNS1_3gpuE3ELNS1_3repE0EEENS1_30default_config_static_selectorELNS0_4arch9wavefront6targetE1EEEvSM_.numbered_sgpr, 0
	.set _ZN7rocprim17ROCPRIM_400000_NS6detail17trampoline_kernelINS0_14default_configENS1_22reduce_config_selectorIfEEZNS1_11reduce_implILb1ES3_N6thrust23THRUST_200600_302600_NS11hip_rocprim26transform_input_iterator_tIfNS8_17counting_iteratorIiNS8_11use_defaultESC_SC_EE11estimate_piEEPffNS8_4plusIfEEEE10hipError_tPvRmT1_T2_T3_mT4_P12ihipStream_tbEUlT_E0_NS1_11comp_targetILNS1_3genE9ELNS1_11target_archE1100ELNS1_3gpuE3ELNS1_3repE0EEENS1_30default_config_static_selectorELNS0_4arch9wavefront6targetE1EEEvSM_.num_named_barrier, 0
	.set _ZN7rocprim17ROCPRIM_400000_NS6detail17trampoline_kernelINS0_14default_configENS1_22reduce_config_selectorIfEEZNS1_11reduce_implILb1ES3_N6thrust23THRUST_200600_302600_NS11hip_rocprim26transform_input_iterator_tIfNS8_17counting_iteratorIiNS8_11use_defaultESC_SC_EE11estimate_piEEPffNS8_4plusIfEEEE10hipError_tPvRmT1_T2_T3_mT4_P12ihipStream_tbEUlT_E0_NS1_11comp_targetILNS1_3genE9ELNS1_11target_archE1100ELNS1_3gpuE3ELNS1_3repE0EEENS1_30default_config_static_selectorELNS0_4arch9wavefront6targetE1EEEvSM_.private_seg_size, 0
	.set _ZN7rocprim17ROCPRIM_400000_NS6detail17trampoline_kernelINS0_14default_configENS1_22reduce_config_selectorIfEEZNS1_11reduce_implILb1ES3_N6thrust23THRUST_200600_302600_NS11hip_rocprim26transform_input_iterator_tIfNS8_17counting_iteratorIiNS8_11use_defaultESC_SC_EE11estimate_piEEPffNS8_4plusIfEEEE10hipError_tPvRmT1_T2_T3_mT4_P12ihipStream_tbEUlT_E0_NS1_11comp_targetILNS1_3genE9ELNS1_11target_archE1100ELNS1_3gpuE3ELNS1_3repE0EEENS1_30default_config_static_selectorELNS0_4arch9wavefront6targetE1EEEvSM_.uses_vcc, 0
	.set _ZN7rocprim17ROCPRIM_400000_NS6detail17trampoline_kernelINS0_14default_configENS1_22reduce_config_selectorIfEEZNS1_11reduce_implILb1ES3_N6thrust23THRUST_200600_302600_NS11hip_rocprim26transform_input_iterator_tIfNS8_17counting_iteratorIiNS8_11use_defaultESC_SC_EE11estimate_piEEPffNS8_4plusIfEEEE10hipError_tPvRmT1_T2_T3_mT4_P12ihipStream_tbEUlT_E0_NS1_11comp_targetILNS1_3genE9ELNS1_11target_archE1100ELNS1_3gpuE3ELNS1_3repE0EEENS1_30default_config_static_selectorELNS0_4arch9wavefront6targetE1EEEvSM_.uses_flat_scratch, 0
	.set _ZN7rocprim17ROCPRIM_400000_NS6detail17trampoline_kernelINS0_14default_configENS1_22reduce_config_selectorIfEEZNS1_11reduce_implILb1ES3_N6thrust23THRUST_200600_302600_NS11hip_rocprim26transform_input_iterator_tIfNS8_17counting_iteratorIiNS8_11use_defaultESC_SC_EE11estimate_piEEPffNS8_4plusIfEEEE10hipError_tPvRmT1_T2_T3_mT4_P12ihipStream_tbEUlT_E0_NS1_11comp_targetILNS1_3genE9ELNS1_11target_archE1100ELNS1_3gpuE3ELNS1_3repE0EEENS1_30default_config_static_selectorELNS0_4arch9wavefront6targetE1EEEvSM_.has_dyn_sized_stack, 0
	.set _ZN7rocprim17ROCPRIM_400000_NS6detail17trampoline_kernelINS0_14default_configENS1_22reduce_config_selectorIfEEZNS1_11reduce_implILb1ES3_N6thrust23THRUST_200600_302600_NS11hip_rocprim26transform_input_iterator_tIfNS8_17counting_iteratorIiNS8_11use_defaultESC_SC_EE11estimate_piEEPffNS8_4plusIfEEEE10hipError_tPvRmT1_T2_T3_mT4_P12ihipStream_tbEUlT_E0_NS1_11comp_targetILNS1_3genE9ELNS1_11target_archE1100ELNS1_3gpuE3ELNS1_3repE0EEENS1_30default_config_static_selectorELNS0_4arch9wavefront6targetE1EEEvSM_.has_recursion, 0
	.set _ZN7rocprim17ROCPRIM_400000_NS6detail17trampoline_kernelINS0_14default_configENS1_22reduce_config_selectorIfEEZNS1_11reduce_implILb1ES3_N6thrust23THRUST_200600_302600_NS11hip_rocprim26transform_input_iterator_tIfNS8_17counting_iteratorIiNS8_11use_defaultESC_SC_EE11estimate_piEEPffNS8_4plusIfEEEE10hipError_tPvRmT1_T2_T3_mT4_P12ihipStream_tbEUlT_E0_NS1_11comp_targetILNS1_3genE9ELNS1_11target_archE1100ELNS1_3gpuE3ELNS1_3repE0EEENS1_30default_config_static_selectorELNS0_4arch9wavefront6targetE1EEEvSM_.has_indirect_call, 0
	.section	.AMDGPU.csdata,"",@progbits
; Kernel info:
; codeLenInByte = 0
; TotalNumSgprs: 4
; NumVgprs: 0
; ScratchSize: 0
; MemoryBound: 0
; FloatMode: 240
; IeeeMode: 1
; LDSByteSize: 0 bytes/workgroup (compile time only)
; SGPRBlocks: 0
; VGPRBlocks: 0
; NumSGPRsForWavesPerEU: 4
; NumVGPRsForWavesPerEU: 1
; Occupancy: 10
; WaveLimiterHint : 0
; COMPUTE_PGM_RSRC2:SCRATCH_EN: 0
; COMPUTE_PGM_RSRC2:USER_SGPR: 6
; COMPUTE_PGM_RSRC2:TRAP_HANDLER: 0
; COMPUTE_PGM_RSRC2:TGID_X_EN: 1
; COMPUTE_PGM_RSRC2:TGID_Y_EN: 0
; COMPUTE_PGM_RSRC2:TGID_Z_EN: 0
; COMPUTE_PGM_RSRC2:TIDIG_COMP_CNT: 0
	.section	.text._ZN7rocprim17ROCPRIM_400000_NS6detail17trampoline_kernelINS0_14default_configENS1_22reduce_config_selectorIfEEZNS1_11reduce_implILb1ES3_N6thrust23THRUST_200600_302600_NS11hip_rocprim26transform_input_iterator_tIfNS8_17counting_iteratorIiNS8_11use_defaultESC_SC_EE11estimate_piEEPffNS8_4plusIfEEEE10hipError_tPvRmT1_T2_T3_mT4_P12ihipStream_tbEUlT_E0_NS1_11comp_targetILNS1_3genE8ELNS1_11target_archE1030ELNS1_3gpuE2ELNS1_3repE0EEENS1_30default_config_static_selectorELNS0_4arch9wavefront6targetE1EEEvSM_,"axG",@progbits,_ZN7rocprim17ROCPRIM_400000_NS6detail17trampoline_kernelINS0_14default_configENS1_22reduce_config_selectorIfEEZNS1_11reduce_implILb1ES3_N6thrust23THRUST_200600_302600_NS11hip_rocprim26transform_input_iterator_tIfNS8_17counting_iteratorIiNS8_11use_defaultESC_SC_EE11estimate_piEEPffNS8_4plusIfEEEE10hipError_tPvRmT1_T2_T3_mT4_P12ihipStream_tbEUlT_E0_NS1_11comp_targetILNS1_3genE8ELNS1_11target_archE1030ELNS1_3gpuE2ELNS1_3repE0EEENS1_30default_config_static_selectorELNS0_4arch9wavefront6targetE1EEEvSM_,comdat
	.protected	_ZN7rocprim17ROCPRIM_400000_NS6detail17trampoline_kernelINS0_14default_configENS1_22reduce_config_selectorIfEEZNS1_11reduce_implILb1ES3_N6thrust23THRUST_200600_302600_NS11hip_rocprim26transform_input_iterator_tIfNS8_17counting_iteratorIiNS8_11use_defaultESC_SC_EE11estimate_piEEPffNS8_4plusIfEEEE10hipError_tPvRmT1_T2_T3_mT4_P12ihipStream_tbEUlT_E0_NS1_11comp_targetILNS1_3genE8ELNS1_11target_archE1030ELNS1_3gpuE2ELNS1_3repE0EEENS1_30default_config_static_selectorELNS0_4arch9wavefront6targetE1EEEvSM_ ; -- Begin function _ZN7rocprim17ROCPRIM_400000_NS6detail17trampoline_kernelINS0_14default_configENS1_22reduce_config_selectorIfEEZNS1_11reduce_implILb1ES3_N6thrust23THRUST_200600_302600_NS11hip_rocprim26transform_input_iterator_tIfNS8_17counting_iteratorIiNS8_11use_defaultESC_SC_EE11estimate_piEEPffNS8_4plusIfEEEE10hipError_tPvRmT1_T2_T3_mT4_P12ihipStream_tbEUlT_E0_NS1_11comp_targetILNS1_3genE8ELNS1_11target_archE1030ELNS1_3gpuE2ELNS1_3repE0EEENS1_30default_config_static_selectorELNS0_4arch9wavefront6targetE1EEEvSM_
	.globl	_ZN7rocprim17ROCPRIM_400000_NS6detail17trampoline_kernelINS0_14default_configENS1_22reduce_config_selectorIfEEZNS1_11reduce_implILb1ES3_N6thrust23THRUST_200600_302600_NS11hip_rocprim26transform_input_iterator_tIfNS8_17counting_iteratorIiNS8_11use_defaultESC_SC_EE11estimate_piEEPffNS8_4plusIfEEEE10hipError_tPvRmT1_T2_T3_mT4_P12ihipStream_tbEUlT_E0_NS1_11comp_targetILNS1_3genE8ELNS1_11target_archE1030ELNS1_3gpuE2ELNS1_3repE0EEENS1_30default_config_static_selectorELNS0_4arch9wavefront6targetE1EEEvSM_
	.p2align	8
	.type	_ZN7rocprim17ROCPRIM_400000_NS6detail17trampoline_kernelINS0_14default_configENS1_22reduce_config_selectorIfEEZNS1_11reduce_implILb1ES3_N6thrust23THRUST_200600_302600_NS11hip_rocprim26transform_input_iterator_tIfNS8_17counting_iteratorIiNS8_11use_defaultESC_SC_EE11estimate_piEEPffNS8_4plusIfEEEE10hipError_tPvRmT1_T2_T3_mT4_P12ihipStream_tbEUlT_E0_NS1_11comp_targetILNS1_3genE8ELNS1_11target_archE1030ELNS1_3gpuE2ELNS1_3repE0EEENS1_30default_config_static_selectorELNS0_4arch9wavefront6targetE1EEEvSM_,@function
_ZN7rocprim17ROCPRIM_400000_NS6detail17trampoline_kernelINS0_14default_configENS1_22reduce_config_selectorIfEEZNS1_11reduce_implILb1ES3_N6thrust23THRUST_200600_302600_NS11hip_rocprim26transform_input_iterator_tIfNS8_17counting_iteratorIiNS8_11use_defaultESC_SC_EE11estimate_piEEPffNS8_4plusIfEEEE10hipError_tPvRmT1_T2_T3_mT4_P12ihipStream_tbEUlT_E0_NS1_11comp_targetILNS1_3genE8ELNS1_11target_archE1030ELNS1_3gpuE2ELNS1_3repE0EEENS1_30default_config_static_selectorELNS0_4arch9wavefront6targetE1EEEvSM_: ; @_ZN7rocprim17ROCPRIM_400000_NS6detail17trampoline_kernelINS0_14default_configENS1_22reduce_config_selectorIfEEZNS1_11reduce_implILb1ES3_N6thrust23THRUST_200600_302600_NS11hip_rocprim26transform_input_iterator_tIfNS8_17counting_iteratorIiNS8_11use_defaultESC_SC_EE11estimate_piEEPffNS8_4plusIfEEEE10hipError_tPvRmT1_T2_T3_mT4_P12ihipStream_tbEUlT_E0_NS1_11comp_targetILNS1_3genE8ELNS1_11target_archE1030ELNS1_3gpuE2ELNS1_3repE0EEENS1_30default_config_static_selectorELNS0_4arch9wavefront6targetE1EEEvSM_
; %bb.0:
	.section	.rodata,"a",@progbits
	.p2align	6, 0x0
	.amdhsa_kernel _ZN7rocprim17ROCPRIM_400000_NS6detail17trampoline_kernelINS0_14default_configENS1_22reduce_config_selectorIfEEZNS1_11reduce_implILb1ES3_N6thrust23THRUST_200600_302600_NS11hip_rocprim26transform_input_iterator_tIfNS8_17counting_iteratorIiNS8_11use_defaultESC_SC_EE11estimate_piEEPffNS8_4plusIfEEEE10hipError_tPvRmT1_T2_T3_mT4_P12ihipStream_tbEUlT_E0_NS1_11comp_targetILNS1_3genE8ELNS1_11target_archE1030ELNS1_3gpuE2ELNS1_3repE0EEENS1_30default_config_static_selectorELNS0_4arch9wavefront6targetE1EEEvSM_
		.amdhsa_group_segment_fixed_size 0
		.amdhsa_private_segment_fixed_size 0
		.amdhsa_kernarg_size 56
		.amdhsa_user_sgpr_count 6
		.amdhsa_user_sgpr_private_segment_buffer 1
		.amdhsa_user_sgpr_dispatch_ptr 0
		.amdhsa_user_sgpr_queue_ptr 0
		.amdhsa_user_sgpr_kernarg_segment_ptr 1
		.amdhsa_user_sgpr_dispatch_id 0
		.amdhsa_user_sgpr_flat_scratch_init 0
		.amdhsa_user_sgpr_private_segment_size 0
		.amdhsa_uses_dynamic_stack 0
		.amdhsa_system_sgpr_private_segment_wavefront_offset 0
		.amdhsa_system_sgpr_workgroup_id_x 1
		.amdhsa_system_sgpr_workgroup_id_y 0
		.amdhsa_system_sgpr_workgroup_id_z 0
		.amdhsa_system_sgpr_workgroup_info 0
		.amdhsa_system_vgpr_workitem_id 0
		.amdhsa_next_free_vgpr 1
		.amdhsa_next_free_sgpr 0
		.amdhsa_reserve_vcc 0
		.amdhsa_reserve_flat_scratch 0
		.amdhsa_float_round_mode_32 0
		.amdhsa_float_round_mode_16_64 0
		.amdhsa_float_denorm_mode_32 3
		.amdhsa_float_denorm_mode_16_64 3
		.amdhsa_dx10_clamp 1
		.amdhsa_ieee_mode 1
		.amdhsa_fp16_overflow 0
		.amdhsa_exception_fp_ieee_invalid_op 0
		.amdhsa_exception_fp_denorm_src 0
		.amdhsa_exception_fp_ieee_div_zero 0
		.amdhsa_exception_fp_ieee_overflow 0
		.amdhsa_exception_fp_ieee_underflow 0
		.amdhsa_exception_fp_ieee_inexact 0
		.amdhsa_exception_int_div_zero 0
	.end_amdhsa_kernel
	.section	.text._ZN7rocprim17ROCPRIM_400000_NS6detail17trampoline_kernelINS0_14default_configENS1_22reduce_config_selectorIfEEZNS1_11reduce_implILb1ES3_N6thrust23THRUST_200600_302600_NS11hip_rocprim26transform_input_iterator_tIfNS8_17counting_iteratorIiNS8_11use_defaultESC_SC_EE11estimate_piEEPffNS8_4plusIfEEEE10hipError_tPvRmT1_T2_T3_mT4_P12ihipStream_tbEUlT_E0_NS1_11comp_targetILNS1_3genE8ELNS1_11target_archE1030ELNS1_3gpuE2ELNS1_3repE0EEENS1_30default_config_static_selectorELNS0_4arch9wavefront6targetE1EEEvSM_,"axG",@progbits,_ZN7rocprim17ROCPRIM_400000_NS6detail17trampoline_kernelINS0_14default_configENS1_22reduce_config_selectorIfEEZNS1_11reduce_implILb1ES3_N6thrust23THRUST_200600_302600_NS11hip_rocprim26transform_input_iterator_tIfNS8_17counting_iteratorIiNS8_11use_defaultESC_SC_EE11estimate_piEEPffNS8_4plusIfEEEE10hipError_tPvRmT1_T2_T3_mT4_P12ihipStream_tbEUlT_E0_NS1_11comp_targetILNS1_3genE8ELNS1_11target_archE1030ELNS1_3gpuE2ELNS1_3repE0EEENS1_30default_config_static_selectorELNS0_4arch9wavefront6targetE1EEEvSM_,comdat
.Lfunc_end26:
	.size	_ZN7rocprim17ROCPRIM_400000_NS6detail17trampoline_kernelINS0_14default_configENS1_22reduce_config_selectorIfEEZNS1_11reduce_implILb1ES3_N6thrust23THRUST_200600_302600_NS11hip_rocprim26transform_input_iterator_tIfNS8_17counting_iteratorIiNS8_11use_defaultESC_SC_EE11estimate_piEEPffNS8_4plusIfEEEE10hipError_tPvRmT1_T2_T3_mT4_P12ihipStream_tbEUlT_E0_NS1_11comp_targetILNS1_3genE8ELNS1_11target_archE1030ELNS1_3gpuE2ELNS1_3repE0EEENS1_30default_config_static_selectorELNS0_4arch9wavefront6targetE1EEEvSM_, .Lfunc_end26-_ZN7rocprim17ROCPRIM_400000_NS6detail17trampoline_kernelINS0_14default_configENS1_22reduce_config_selectorIfEEZNS1_11reduce_implILb1ES3_N6thrust23THRUST_200600_302600_NS11hip_rocprim26transform_input_iterator_tIfNS8_17counting_iteratorIiNS8_11use_defaultESC_SC_EE11estimate_piEEPffNS8_4plusIfEEEE10hipError_tPvRmT1_T2_T3_mT4_P12ihipStream_tbEUlT_E0_NS1_11comp_targetILNS1_3genE8ELNS1_11target_archE1030ELNS1_3gpuE2ELNS1_3repE0EEENS1_30default_config_static_selectorELNS0_4arch9wavefront6targetE1EEEvSM_
                                        ; -- End function
	.set _ZN7rocprim17ROCPRIM_400000_NS6detail17trampoline_kernelINS0_14default_configENS1_22reduce_config_selectorIfEEZNS1_11reduce_implILb1ES3_N6thrust23THRUST_200600_302600_NS11hip_rocprim26transform_input_iterator_tIfNS8_17counting_iteratorIiNS8_11use_defaultESC_SC_EE11estimate_piEEPffNS8_4plusIfEEEE10hipError_tPvRmT1_T2_T3_mT4_P12ihipStream_tbEUlT_E0_NS1_11comp_targetILNS1_3genE8ELNS1_11target_archE1030ELNS1_3gpuE2ELNS1_3repE0EEENS1_30default_config_static_selectorELNS0_4arch9wavefront6targetE1EEEvSM_.num_vgpr, 0
	.set _ZN7rocprim17ROCPRIM_400000_NS6detail17trampoline_kernelINS0_14default_configENS1_22reduce_config_selectorIfEEZNS1_11reduce_implILb1ES3_N6thrust23THRUST_200600_302600_NS11hip_rocprim26transform_input_iterator_tIfNS8_17counting_iteratorIiNS8_11use_defaultESC_SC_EE11estimate_piEEPffNS8_4plusIfEEEE10hipError_tPvRmT1_T2_T3_mT4_P12ihipStream_tbEUlT_E0_NS1_11comp_targetILNS1_3genE8ELNS1_11target_archE1030ELNS1_3gpuE2ELNS1_3repE0EEENS1_30default_config_static_selectorELNS0_4arch9wavefront6targetE1EEEvSM_.num_agpr, 0
	.set _ZN7rocprim17ROCPRIM_400000_NS6detail17trampoline_kernelINS0_14default_configENS1_22reduce_config_selectorIfEEZNS1_11reduce_implILb1ES3_N6thrust23THRUST_200600_302600_NS11hip_rocprim26transform_input_iterator_tIfNS8_17counting_iteratorIiNS8_11use_defaultESC_SC_EE11estimate_piEEPffNS8_4plusIfEEEE10hipError_tPvRmT1_T2_T3_mT4_P12ihipStream_tbEUlT_E0_NS1_11comp_targetILNS1_3genE8ELNS1_11target_archE1030ELNS1_3gpuE2ELNS1_3repE0EEENS1_30default_config_static_selectorELNS0_4arch9wavefront6targetE1EEEvSM_.numbered_sgpr, 0
	.set _ZN7rocprim17ROCPRIM_400000_NS6detail17trampoline_kernelINS0_14default_configENS1_22reduce_config_selectorIfEEZNS1_11reduce_implILb1ES3_N6thrust23THRUST_200600_302600_NS11hip_rocprim26transform_input_iterator_tIfNS8_17counting_iteratorIiNS8_11use_defaultESC_SC_EE11estimate_piEEPffNS8_4plusIfEEEE10hipError_tPvRmT1_T2_T3_mT4_P12ihipStream_tbEUlT_E0_NS1_11comp_targetILNS1_3genE8ELNS1_11target_archE1030ELNS1_3gpuE2ELNS1_3repE0EEENS1_30default_config_static_selectorELNS0_4arch9wavefront6targetE1EEEvSM_.num_named_barrier, 0
	.set _ZN7rocprim17ROCPRIM_400000_NS6detail17trampoline_kernelINS0_14default_configENS1_22reduce_config_selectorIfEEZNS1_11reduce_implILb1ES3_N6thrust23THRUST_200600_302600_NS11hip_rocprim26transform_input_iterator_tIfNS8_17counting_iteratorIiNS8_11use_defaultESC_SC_EE11estimate_piEEPffNS8_4plusIfEEEE10hipError_tPvRmT1_T2_T3_mT4_P12ihipStream_tbEUlT_E0_NS1_11comp_targetILNS1_3genE8ELNS1_11target_archE1030ELNS1_3gpuE2ELNS1_3repE0EEENS1_30default_config_static_selectorELNS0_4arch9wavefront6targetE1EEEvSM_.private_seg_size, 0
	.set _ZN7rocprim17ROCPRIM_400000_NS6detail17trampoline_kernelINS0_14default_configENS1_22reduce_config_selectorIfEEZNS1_11reduce_implILb1ES3_N6thrust23THRUST_200600_302600_NS11hip_rocprim26transform_input_iterator_tIfNS8_17counting_iteratorIiNS8_11use_defaultESC_SC_EE11estimate_piEEPffNS8_4plusIfEEEE10hipError_tPvRmT1_T2_T3_mT4_P12ihipStream_tbEUlT_E0_NS1_11comp_targetILNS1_3genE8ELNS1_11target_archE1030ELNS1_3gpuE2ELNS1_3repE0EEENS1_30default_config_static_selectorELNS0_4arch9wavefront6targetE1EEEvSM_.uses_vcc, 0
	.set _ZN7rocprim17ROCPRIM_400000_NS6detail17trampoline_kernelINS0_14default_configENS1_22reduce_config_selectorIfEEZNS1_11reduce_implILb1ES3_N6thrust23THRUST_200600_302600_NS11hip_rocprim26transform_input_iterator_tIfNS8_17counting_iteratorIiNS8_11use_defaultESC_SC_EE11estimate_piEEPffNS8_4plusIfEEEE10hipError_tPvRmT1_T2_T3_mT4_P12ihipStream_tbEUlT_E0_NS1_11comp_targetILNS1_3genE8ELNS1_11target_archE1030ELNS1_3gpuE2ELNS1_3repE0EEENS1_30default_config_static_selectorELNS0_4arch9wavefront6targetE1EEEvSM_.uses_flat_scratch, 0
	.set _ZN7rocprim17ROCPRIM_400000_NS6detail17trampoline_kernelINS0_14default_configENS1_22reduce_config_selectorIfEEZNS1_11reduce_implILb1ES3_N6thrust23THRUST_200600_302600_NS11hip_rocprim26transform_input_iterator_tIfNS8_17counting_iteratorIiNS8_11use_defaultESC_SC_EE11estimate_piEEPffNS8_4plusIfEEEE10hipError_tPvRmT1_T2_T3_mT4_P12ihipStream_tbEUlT_E0_NS1_11comp_targetILNS1_3genE8ELNS1_11target_archE1030ELNS1_3gpuE2ELNS1_3repE0EEENS1_30default_config_static_selectorELNS0_4arch9wavefront6targetE1EEEvSM_.has_dyn_sized_stack, 0
	.set _ZN7rocprim17ROCPRIM_400000_NS6detail17trampoline_kernelINS0_14default_configENS1_22reduce_config_selectorIfEEZNS1_11reduce_implILb1ES3_N6thrust23THRUST_200600_302600_NS11hip_rocprim26transform_input_iterator_tIfNS8_17counting_iteratorIiNS8_11use_defaultESC_SC_EE11estimate_piEEPffNS8_4plusIfEEEE10hipError_tPvRmT1_T2_T3_mT4_P12ihipStream_tbEUlT_E0_NS1_11comp_targetILNS1_3genE8ELNS1_11target_archE1030ELNS1_3gpuE2ELNS1_3repE0EEENS1_30default_config_static_selectorELNS0_4arch9wavefront6targetE1EEEvSM_.has_recursion, 0
	.set _ZN7rocprim17ROCPRIM_400000_NS6detail17trampoline_kernelINS0_14default_configENS1_22reduce_config_selectorIfEEZNS1_11reduce_implILb1ES3_N6thrust23THRUST_200600_302600_NS11hip_rocprim26transform_input_iterator_tIfNS8_17counting_iteratorIiNS8_11use_defaultESC_SC_EE11estimate_piEEPffNS8_4plusIfEEEE10hipError_tPvRmT1_T2_T3_mT4_P12ihipStream_tbEUlT_E0_NS1_11comp_targetILNS1_3genE8ELNS1_11target_archE1030ELNS1_3gpuE2ELNS1_3repE0EEENS1_30default_config_static_selectorELNS0_4arch9wavefront6targetE1EEEvSM_.has_indirect_call, 0
	.section	.AMDGPU.csdata,"",@progbits
; Kernel info:
; codeLenInByte = 0
; TotalNumSgprs: 4
; NumVgprs: 0
; ScratchSize: 0
; MemoryBound: 0
; FloatMode: 240
; IeeeMode: 1
; LDSByteSize: 0 bytes/workgroup (compile time only)
; SGPRBlocks: 0
; VGPRBlocks: 0
; NumSGPRsForWavesPerEU: 4
; NumVGPRsForWavesPerEU: 1
; Occupancy: 10
; WaveLimiterHint : 0
; COMPUTE_PGM_RSRC2:SCRATCH_EN: 0
; COMPUTE_PGM_RSRC2:USER_SGPR: 6
; COMPUTE_PGM_RSRC2:TRAP_HANDLER: 0
; COMPUTE_PGM_RSRC2:TGID_X_EN: 1
; COMPUTE_PGM_RSRC2:TGID_Y_EN: 0
; COMPUTE_PGM_RSRC2:TGID_Z_EN: 0
; COMPUTE_PGM_RSRC2:TIDIG_COMP_CNT: 0
	.section	.text._ZN7rocprim17ROCPRIM_400000_NS6detail17trampoline_kernelINS0_14default_configENS1_22reduce_config_selectorIfEEZNS1_11reduce_implILb1ES3_N6thrust23THRUST_200600_302600_NS11hip_rocprim26transform_input_iterator_tIfNS8_17counting_iteratorIiNS8_11use_defaultESC_SC_EE11estimate_piEEPffNS8_4plusIfEEEE10hipError_tPvRmT1_T2_T3_mT4_P12ihipStream_tbEUlT_E1_NS1_11comp_targetILNS1_3genE0ELNS1_11target_archE4294967295ELNS1_3gpuE0ELNS1_3repE0EEENS1_30default_config_static_selectorELNS0_4arch9wavefront6targetE1EEEvSM_,"axG",@progbits,_ZN7rocprim17ROCPRIM_400000_NS6detail17trampoline_kernelINS0_14default_configENS1_22reduce_config_selectorIfEEZNS1_11reduce_implILb1ES3_N6thrust23THRUST_200600_302600_NS11hip_rocprim26transform_input_iterator_tIfNS8_17counting_iteratorIiNS8_11use_defaultESC_SC_EE11estimate_piEEPffNS8_4plusIfEEEE10hipError_tPvRmT1_T2_T3_mT4_P12ihipStream_tbEUlT_E1_NS1_11comp_targetILNS1_3genE0ELNS1_11target_archE4294967295ELNS1_3gpuE0ELNS1_3repE0EEENS1_30default_config_static_selectorELNS0_4arch9wavefront6targetE1EEEvSM_,comdat
	.protected	_ZN7rocprim17ROCPRIM_400000_NS6detail17trampoline_kernelINS0_14default_configENS1_22reduce_config_selectorIfEEZNS1_11reduce_implILb1ES3_N6thrust23THRUST_200600_302600_NS11hip_rocprim26transform_input_iterator_tIfNS8_17counting_iteratorIiNS8_11use_defaultESC_SC_EE11estimate_piEEPffNS8_4plusIfEEEE10hipError_tPvRmT1_T2_T3_mT4_P12ihipStream_tbEUlT_E1_NS1_11comp_targetILNS1_3genE0ELNS1_11target_archE4294967295ELNS1_3gpuE0ELNS1_3repE0EEENS1_30default_config_static_selectorELNS0_4arch9wavefront6targetE1EEEvSM_ ; -- Begin function _ZN7rocprim17ROCPRIM_400000_NS6detail17trampoline_kernelINS0_14default_configENS1_22reduce_config_selectorIfEEZNS1_11reduce_implILb1ES3_N6thrust23THRUST_200600_302600_NS11hip_rocprim26transform_input_iterator_tIfNS8_17counting_iteratorIiNS8_11use_defaultESC_SC_EE11estimate_piEEPffNS8_4plusIfEEEE10hipError_tPvRmT1_T2_T3_mT4_P12ihipStream_tbEUlT_E1_NS1_11comp_targetILNS1_3genE0ELNS1_11target_archE4294967295ELNS1_3gpuE0ELNS1_3repE0EEENS1_30default_config_static_selectorELNS0_4arch9wavefront6targetE1EEEvSM_
	.globl	_ZN7rocprim17ROCPRIM_400000_NS6detail17trampoline_kernelINS0_14default_configENS1_22reduce_config_selectorIfEEZNS1_11reduce_implILb1ES3_N6thrust23THRUST_200600_302600_NS11hip_rocprim26transform_input_iterator_tIfNS8_17counting_iteratorIiNS8_11use_defaultESC_SC_EE11estimate_piEEPffNS8_4plusIfEEEE10hipError_tPvRmT1_T2_T3_mT4_P12ihipStream_tbEUlT_E1_NS1_11comp_targetILNS1_3genE0ELNS1_11target_archE4294967295ELNS1_3gpuE0ELNS1_3repE0EEENS1_30default_config_static_selectorELNS0_4arch9wavefront6targetE1EEEvSM_
	.p2align	8
	.type	_ZN7rocprim17ROCPRIM_400000_NS6detail17trampoline_kernelINS0_14default_configENS1_22reduce_config_selectorIfEEZNS1_11reduce_implILb1ES3_N6thrust23THRUST_200600_302600_NS11hip_rocprim26transform_input_iterator_tIfNS8_17counting_iteratorIiNS8_11use_defaultESC_SC_EE11estimate_piEEPffNS8_4plusIfEEEE10hipError_tPvRmT1_T2_T3_mT4_P12ihipStream_tbEUlT_E1_NS1_11comp_targetILNS1_3genE0ELNS1_11target_archE4294967295ELNS1_3gpuE0ELNS1_3repE0EEENS1_30default_config_static_selectorELNS0_4arch9wavefront6targetE1EEEvSM_,@function
_ZN7rocprim17ROCPRIM_400000_NS6detail17trampoline_kernelINS0_14default_configENS1_22reduce_config_selectorIfEEZNS1_11reduce_implILb1ES3_N6thrust23THRUST_200600_302600_NS11hip_rocprim26transform_input_iterator_tIfNS8_17counting_iteratorIiNS8_11use_defaultESC_SC_EE11estimate_piEEPffNS8_4plusIfEEEE10hipError_tPvRmT1_T2_T3_mT4_P12ihipStream_tbEUlT_E1_NS1_11comp_targetILNS1_3genE0ELNS1_11target_archE4294967295ELNS1_3gpuE0ELNS1_3repE0EEENS1_30default_config_static_selectorELNS0_4arch9wavefront6targetE1EEEvSM_: ; @_ZN7rocprim17ROCPRIM_400000_NS6detail17trampoline_kernelINS0_14default_configENS1_22reduce_config_selectorIfEEZNS1_11reduce_implILb1ES3_N6thrust23THRUST_200600_302600_NS11hip_rocprim26transform_input_iterator_tIfNS8_17counting_iteratorIiNS8_11use_defaultESC_SC_EE11estimate_piEEPffNS8_4plusIfEEEE10hipError_tPvRmT1_T2_T3_mT4_P12ihipStream_tbEUlT_E1_NS1_11comp_targetILNS1_3genE0ELNS1_11target_archE4294967295ELNS1_3gpuE0ELNS1_3repE0EEENS1_30default_config_static_selectorELNS0_4arch9wavefront6targetE1EEEvSM_
; %bb.0:
	.section	.rodata,"a",@progbits
	.p2align	6, 0x0
	.amdhsa_kernel _ZN7rocprim17ROCPRIM_400000_NS6detail17trampoline_kernelINS0_14default_configENS1_22reduce_config_selectorIfEEZNS1_11reduce_implILb1ES3_N6thrust23THRUST_200600_302600_NS11hip_rocprim26transform_input_iterator_tIfNS8_17counting_iteratorIiNS8_11use_defaultESC_SC_EE11estimate_piEEPffNS8_4plusIfEEEE10hipError_tPvRmT1_T2_T3_mT4_P12ihipStream_tbEUlT_E1_NS1_11comp_targetILNS1_3genE0ELNS1_11target_archE4294967295ELNS1_3gpuE0ELNS1_3repE0EEENS1_30default_config_static_selectorELNS0_4arch9wavefront6targetE1EEEvSM_
		.amdhsa_group_segment_fixed_size 0
		.amdhsa_private_segment_fixed_size 0
		.amdhsa_kernarg_size 40
		.amdhsa_user_sgpr_count 6
		.amdhsa_user_sgpr_private_segment_buffer 1
		.amdhsa_user_sgpr_dispatch_ptr 0
		.amdhsa_user_sgpr_queue_ptr 0
		.amdhsa_user_sgpr_kernarg_segment_ptr 1
		.amdhsa_user_sgpr_dispatch_id 0
		.amdhsa_user_sgpr_flat_scratch_init 0
		.amdhsa_user_sgpr_private_segment_size 0
		.amdhsa_uses_dynamic_stack 0
		.amdhsa_system_sgpr_private_segment_wavefront_offset 0
		.amdhsa_system_sgpr_workgroup_id_x 1
		.amdhsa_system_sgpr_workgroup_id_y 0
		.amdhsa_system_sgpr_workgroup_id_z 0
		.amdhsa_system_sgpr_workgroup_info 0
		.amdhsa_system_vgpr_workitem_id 0
		.amdhsa_next_free_vgpr 1
		.amdhsa_next_free_sgpr 0
		.amdhsa_reserve_vcc 0
		.amdhsa_reserve_flat_scratch 0
		.amdhsa_float_round_mode_32 0
		.amdhsa_float_round_mode_16_64 0
		.amdhsa_float_denorm_mode_32 3
		.amdhsa_float_denorm_mode_16_64 3
		.amdhsa_dx10_clamp 1
		.amdhsa_ieee_mode 1
		.amdhsa_fp16_overflow 0
		.amdhsa_exception_fp_ieee_invalid_op 0
		.amdhsa_exception_fp_denorm_src 0
		.amdhsa_exception_fp_ieee_div_zero 0
		.amdhsa_exception_fp_ieee_overflow 0
		.amdhsa_exception_fp_ieee_underflow 0
		.amdhsa_exception_fp_ieee_inexact 0
		.amdhsa_exception_int_div_zero 0
	.end_amdhsa_kernel
	.section	.text._ZN7rocprim17ROCPRIM_400000_NS6detail17trampoline_kernelINS0_14default_configENS1_22reduce_config_selectorIfEEZNS1_11reduce_implILb1ES3_N6thrust23THRUST_200600_302600_NS11hip_rocprim26transform_input_iterator_tIfNS8_17counting_iteratorIiNS8_11use_defaultESC_SC_EE11estimate_piEEPffNS8_4plusIfEEEE10hipError_tPvRmT1_T2_T3_mT4_P12ihipStream_tbEUlT_E1_NS1_11comp_targetILNS1_3genE0ELNS1_11target_archE4294967295ELNS1_3gpuE0ELNS1_3repE0EEENS1_30default_config_static_selectorELNS0_4arch9wavefront6targetE1EEEvSM_,"axG",@progbits,_ZN7rocprim17ROCPRIM_400000_NS6detail17trampoline_kernelINS0_14default_configENS1_22reduce_config_selectorIfEEZNS1_11reduce_implILb1ES3_N6thrust23THRUST_200600_302600_NS11hip_rocprim26transform_input_iterator_tIfNS8_17counting_iteratorIiNS8_11use_defaultESC_SC_EE11estimate_piEEPffNS8_4plusIfEEEE10hipError_tPvRmT1_T2_T3_mT4_P12ihipStream_tbEUlT_E1_NS1_11comp_targetILNS1_3genE0ELNS1_11target_archE4294967295ELNS1_3gpuE0ELNS1_3repE0EEENS1_30default_config_static_selectorELNS0_4arch9wavefront6targetE1EEEvSM_,comdat
.Lfunc_end27:
	.size	_ZN7rocprim17ROCPRIM_400000_NS6detail17trampoline_kernelINS0_14default_configENS1_22reduce_config_selectorIfEEZNS1_11reduce_implILb1ES3_N6thrust23THRUST_200600_302600_NS11hip_rocprim26transform_input_iterator_tIfNS8_17counting_iteratorIiNS8_11use_defaultESC_SC_EE11estimate_piEEPffNS8_4plusIfEEEE10hipError_tPvRmT1_T2_T3_mT4_P12ihipStream_tbEUlT_E1_NS1_11comp_targetILNS1_3genE0ELNS1_11target_archE4294967295ELNS1_3gpuE0ELNS1_3repE0EEENS1_30default_config_static_selectorELNS0_4arch9wavefront6targetE1EEEvSM_, .Lfunc_end27-_ZN7rocprim17ROCPRIM_400000_NS6detail17trampoline_kernelINS0_14default_configENS1_22reduce_config_selectorIfEEZNS1_11reduce_implILb1ES3_N6thrust23THRUST_200600_302600_NS11hip_rocprim26transform_input_iterator_tIfNS8_17counting_iteratorIiNS8_11use_defaultESC_SC_EE11estimate_piEEPffNS8_4plusIfEEEE10hipError_tPvRmT1_T2_T3_mT4_P12ihipStream_tbEUlT_E1_NS1_11comp_targetILNS1_3genE0ELNS1_11target_archE4294967295ELNS1_3gpuE0ELNS1_3repE0EEENS1_30default_config_static_selectorELNS0_4arch9wavefront6targetE1EEEvSM_
                                        ; -- End function
	.set _ZN7rocprim17ROCPRIM_400000_NS6detail17trampoline_kernelINS0_14default_configENS1_22reduce_config_selectorIfEEZNS1_11reduce_implILb1ES3_N6thrust23THRUST_200600_302600_NS11hip_rocprim26transform_input_iterator_tIfNS8_17counting_iteratorIiNS8_11use_defaultESC_SC_EE11estimate_piEEPffNS8_4plusIfEEEE10hipError_tPvRmT1_T2_T3_mT4_P12ihipStream_tbEUlT_E1_NS1_11comp_targetILNS1_3genE0ELNS1_11target_archE4294967295ELNS1_3gpuE0ELNS1_3repE0EEENS1_30default_config_static_selectorELNS0_4arch9wavefront6targetE1EEEvSM_.num_vgpr, 0
	.set _ZN7rocprim17ROCPRIM_400000_NS6detail17trampoline_kernelINS0_14default_configENS1_22reduce_config_selectorIfEEZNS1_11reduce_implILb1ES3_N6thrust23THRUST_200600_302600_NS11hip_rocprim26transform_input_iterator_tIfNS8_17counting_iteratorIiNS8_11use_defaultESC_SC_EE11estimate_piEEPffNS8_4plusIfEEEE10hipError_tPvRmT1_T2_T3_mT4_P12ihipStream_tbEUlT_E1_NS1_11comp_targetILNS1_3genE0ELNS1_11target_archE4294967295ELNS1_3gpuE0ELNS1_3repE0EEENS1_30default_config_static_selectorELNS0_4arch9wavefront6targetE1EEEvSM_.num_agpr, 0
	.set _ZN7rocprim17ROCPRIM_400000_NS6detail17trampoline_kernelINS0_14default_configENS1_22reduce_config_selectorIfEEZNS1_11reduce_implILb1ES3_N6thrust23THRUST_200600_302600_NS11hip_rocprim26transform_input_iterator_tIfNS8_17counting_iteratorIiNS8_11use_defaultESC_SC_EE11estimate_piEEPffNS8_4plusIfEEEE10hipError_tPvRmT1_T2_T3_mT4_P12ihipStream_tbEUlT_E1_NS1_11comp_targetILNS1_3genE0ELNS1_11target_archE4294967295ELNS1_3gpuE0ELNS1_3repE0EEENS1_30default_config_static_selectorELNS0_4arch9wavefront6targetE1EEEvSM_.numbered_sgpr, 0
	.set _ZN7rocprim17ROCPRIM_400000_NS6detail17trampoline_kernelINS0_14default_configENS1_22reduce_config_selectorIfEEZNS1_11reduce_implILb1ES3_N6thrust23THRUST_200600_302600_NS11hip_rocprim26transform_input_iterator_tIfNS8_17counting_iteratorIiNS8_11use_defaultESC_SC_EE11estimate_piEEPffNS8_4plusIfEEEE10hipError_tPvRmT1_T2_T3_mT4_P12ihipStream_tbEUlT_E1_NS1_11comp_targetILNS1_3genE0ELNS1_11target_archE4294967295ELNS1_3gpuE0ELNS1_3repE0EEENS1_30default_config_static_selectorELNS0_4arch9wavefront6targetE1EEEvSM_.num_named_barrier, 0
	.set _ZN7rocprim17ROCPRIM_400000_NS6detail17trampoline_kernelINS0_14default_configENS1_22reduce_config_selectorIfEEZNS1_11reduce_implILb1ES3_N6thrust23THRUST_200600_302600_NS11hip_rocprim26transform_input_iterator_tIfNS8_17counting_iteratorIiNS8_11use_defaultESC_SC_EE11estimate_piEEPffNS8_4plusIfEEEE10hipError_tPvRmT1_T2_T3_mT4_P12ihipStream_tbEUlT_E1_NS1_11comp_targetILNS1_3genE0ELNS1_11target_archE4294967295ELNS1_3gpuE0ELNS1_3repE0EEENS1_30default_config_static_selectorELNS0_4arch9wavefront6targetE1EEEvSM_.private_seg_size, 0
	.set _ZN7rocprim17ROCPRIM_400000_NS6detail17trampoline_kernelINS0_14default_configENS1_22reduce_config_selectorIfEEZNS1_11reduce_implILb1ES3_N6thrust23THRUST_200600_302600_NS11hip_rocprim26transform_input_iterator_tIfNS8_17counting_iteratorIiNS8_11use_defaultESC_SC_EE11estimate_piEEPffNS8_4plusIfEEEE10hipError_tPvRmT1_T2_T3_mT4_P12ihipStream_tbEUlT_E1_NS1_11comp_targetILNS1_3genE0ELNS1_11target_archE4294967295ELNS1_3gpuE0ELNS1_3repE0EEENS1_30default_config_static_selectorELNS0_4arch9wavefront6targetE1EEEvSM_.uses_vcc, 0
	.set _ZN7rocprim17ROCPRIM_400000_NS6detail17trampoline_kernelINS0_14default_configENS1_22reduce_config_selectorIfEEZNS1_11reduce_implILb1ES3_N6thrust23THRUST_200600_302600_NS11hip_rocprim26transform_input_iterator_tIfNS8_17counting_iteratorIiNS8_11use_defaultESC_SC_EE11estimate_piEEPffNS8_4plusIfEEEE10hipError_tPvRmT1_T2_T3_mT4_P12ihipStream_tbEUlT_E1_NS1_11comp_targetILNS1_3genE0ELNS1_11target_archE4294967295ELNS1_3gpuE0ELNS1_3repE0EEENS1_30default_config_static_selectorELNS0_4arch9wavefront6targetE1EEEvSM_.uses_flat_scratch, 0
	.set _ZN7rocprim17ROCPRIM_400000_NS6detail17trampoline_kernelINS0_14default_configENS1_22reduce_config_selectorIfEEZNS1_11reduce_implILb1ES3_N6thrust23THRUST_200600_302600_NS11hip_rocprim26transform_input_iterator_tIfNS8_17counting_iteratorIiNS8_11use_defaultESC_SC_EE11estimate_piEEPffNS8_4plusIfEEEE10hipError_tPvRmT1_T2_T3_mT4_P12ihipStream_tbEUlT_E1_NS1_11comp_targetILNS1_3genE0ELNS1_11target_archE4294967295ELNS1_3gpuE0ELNS1_3repE0EEENS1_30default_config_static_selectorELNS0_4arch9wavefront6targetE1EEEvSM_.has_dyn_sized_stack, 0
	.set _ZN7rocprim17ROCPRIM_400000_NS6detail17trampoline_kernelINS0_14default_configENS1_22reduce_config_selectorIfEEZNS1_11reduce_implILb1ES3_N6thrust23THRUST_200600_302600_NS11hip_rocprim26transform_input_iterator_tIfNS8_17counting_iteratorIiNS8_11use_defaultESC_SC_EE11estimate_piEEPffNS8_4plusIfEEEE10hipError_tPvRmT1_T2_T3_mT4_P12ihipStream_tbEUlT_E1_NS1_11comp_targetILNS1_3genE0ELNS1_11target_archE4294967295ELNS1_3gpuE0ELNS1_3repE0EEENS1_30default_config_static_selectorELNS0_4arch9wavefront6targetE1EEEvSM_.has_recursion, 0
	.set _ZN7rocprim17ROCPRIM_400000_NS6detail17trampoline_kernelINS0_14default_configENS1_22reduce_config_selectorIfEEZNS1_11reduce_implILb1ES3_N6thrust23THRUST_200600_302600_NS11hip_rocprim26transform_input_iterator_tIfNS8_17counting_iteratorIiNS8_11use_defaultESC_SC_EE11estimate_piEEPffNS8_4plusIfEEEE10hipError_tPvRmT1_T2_T3_mT4_P12ihipStream_tbEUlT_E1_NS1_11comp_targetILNS1_3genE0ELNS1_11target_archE4294967295ELNS1_3gpuE0ELNS1_3repE0EEENS1_30default_config_static_selectorELNS0_4arch9wavefront6targetE1EEEvSM_.has_indirect_call, 0
	.section	.AMDGPU.csdata,"",@progbits
; Kernel info:
; codeLenInByte = 0
; TotalNumSgprs: 4
; NumVgprs: 0
; ScratchSize: 0
; MemoryBound: 0
; FloatMode: 240
; IeeeMode: 1
; LDSByteSize: 0 bytes/workgroup (compile time only)
; SGPRBlocks: 0
; VGPRBlocks: 0
; NumSGPRsForWavesPerEU: 4
; NumVGPRsForWavesPerEU: 1
; Occupancy: 10
; WaveLimiterHint : 0
; COMPUTE_PGM_RSRC2:SCRATCH_EN: 0
; COMPUTE_PGM_RSRC2:USER_SGPR: 6
; COMPUTE_PGM_RSRC2:TRAP_HANDLER: 0
; COMPUTE_PGM_RSRC2:TGID_X_EN: 1
; COMPUTE_PGM_RSRC2:TGID_Y_EN: 0
; COMPUTE_PGM_RSRC2:TGID_Z_EN: 0
; COMPUTE_PGM_RSRC2:TIDIG_COMP_CNT: 0
	.section	.text._ZN7rocprim17ROCPRIM_400000_NS6detail17trampoline_kernelINS0_14default_configENS1_22reduce_config_selectorIfEEZNS1_11reduce_implILb1ES3_N6thrust23THRUST_200600_302600_NS11hip_rocprim26transform_input_iterator_tIfNS8_17counting_iteratorIiNS8_11use_defaultESC_SC_EE11estimate_piEEPffNS8_4plusIfEEEE10hipError_tPvRmT1_T2_T3_mT4_P12ihipStream_tbEUlT_E1_NS1_11comp_targetILNS1_3genE5ELNS1_11target_archE942ELNS1_3gpuE9ELNS1_3repE0EEENS1_30default_config_static_selectorELNS0_4arch9wavefront6targetE1EEEvSM_,"axG",@progbits,_ZN7rocprim17ROCPRIM_400000_NS6detail17trampoline_kernelINS0_14default_configENS1_22reduce_config_selectorIfEEZNS1_11reduce_implILb1ES3_N6thrust23THRUST_200600_302600_NS11hip_rocprim26transform_input_iterator_tIfNS8_17counting_iteratorIiNS8_11use_defaultESC_SC_EE11estimate_piEEPffNS8_4plusIfEEEE10hipError_tPvRmT1_T2_T3_mT4_P12ihipStream_tbEUlT_E1_NS1_11comp_targetILNS1_3genE5ELNS1_11target_archE942ELNS1_3gpuE9ELNS1_3repE0EEENS1_30default_config_static_selectorELNS0_4arch9wavefront6targetE1EEEvSM_,comdat
	.protected	_ZN7rocprim17ROCPRIM_400000_NS6detail17trampoline_kernelINS0_14default_configENS1_22reduce_config_selectorIfEEZNS1_11reduce_implILb1ES3_N6thrust23THRUST_200600_302600_NS11hip_rocprim26transform_input_iterator_tIfNS8_17counting_iteratorIiNS8_11use_defaultESC_SC_EE11estimate_piEEPffNS8_4plusIfEEEE10hipError_tPvRmT1_T2_T3_mT4_P12ihipStream_tbEUlT_E1_NS1_11comp_targetILNS1_3genE5ELNS1_11target_archE942ELNS1_3gpuE9ELNS1_3repE0EEENS1_30default_config_static_selectorELNS0_4arch9wavefront6targetE1EEEvSM_ ; -- Begin function _ZN7rocprim17ROCPRIM_400000_NS6detail17trampoline_kernelINS0_14default_configENS1_22reduce_config_selectorIfEEZNS1_11reduce_implILb1ES3_N6thrust23THRUST_200600_302600_NS11hip_rocprim26transform_input_iterator_tIfNS8_17counting_iteratorIiNS8_11use_defaultESC_SC_EE11estimate_piEEPffNS8_4plusIfEEEE10hipError_tPvRmT1_T2_T3_mT4_P12ihipStream_tbEUlT_E1_NS1_11comp_targetILNS1_3genE5ELNS1_11target_archE942ELNS1_3gpuE9ELNS1_3repE0EEENS1_30default_config_static_selectorELNS0_4arch9wavefront6targetE1EEEvSM_
	.globl	_ZN7rocprim17ROCPRIM_400000_NS6detail17trampoline_kernelINS0_14default_configENS1_22reduce_config_selectorIfEEZNS1_11reduce_implILb1ES3_N6thrust23THRUST_200600_302600_NS11hip_rocprim26transform_input_iterator_tIfNS8_17counting_iteratorIiNS8_11use_defaultESC_SC_EE11estimate_piEEPffNS8_4plusIfEEEE10hipError_tPvRmT1_T2_T3_mT4_P12ihipStream_tbEUlT_E1_NS1_11comp_targetILNS1_3genE5ELNS1_11target_archE942ELNS1_3gpuE9ELNS1_3repE0EEENS1_30default_config_static_selectorELNS0_4arch9wavefront6targetE1EEEvSM_
	.p2align	8
	.type	_ZN7rocprim17ROCPRIM_400000_NS6detail17trampoline_kernelINS0_14default_configENS1_22reduce_config_selectorIfEEZNS1_11reduce_implILb1ES3_N6thrust23THRUST_200600_302600_NS11hip_rocprim26transform_input_iterator_tIfNS8_17counting_iteratorIiNS8_11use_defaultESC_SC_EE11estimate_piEEPffNS8_4plusIfEEEE10hipError_tPvRmT1_T2_T3_mT4_P12ihipStream_tbEUlT_E1_NS1_11comp_targetILNS1_3genE5ELNS1_11target_archE942ELNS1_3gpuE9ELNS1_3repE0EEENS1_30default_config_static_selectorELNS0_4arch9wavefront6targetE1EEEvSM_,@function
_ZN7rocprim17ROCPRIM_400000_NS6detail17trampoline_kernelINS0_14default_configENS1_22reduce_config_selectorIfEEZNS1_11reduce_implILb1ES3_N6thrust23THRUST_200600_302600_NS11hip_rocprim26transform_input_iterator_tIfNS8_17counting_iteratorIiNS8_11use_defaultESC_SC_EE11estimate_piEEPffNS8_4plusIfEEEE10hipError_tPvRmT1_T2_T3_mT4_P12ihipStream_tbEUlT_E1_NS1_11comp_targetILNS1_3genE5ELNS1_11target_archE942ELNS1_3gpuE9ELNS1_3repE0EEENS1_30default_config_static_selectorELNS0_4arch9wavefront6targetE1EEEvSM_: ; @_ZN7rocprim17ROCPRIM_400000_NS6detail17trampoline_kernelINS0_14default_configENS1_22reduce_config_selectorIfEEZNS1_11reduce_implILb1ES3_N6thrust23THRUST_200600_302600_NS11hip_rocprim26transform_input_iterator_tIfNS8_17counting_iteratorIiNS8_11use_defaultESC_SC_EE11estimate_piEEPffNS8_4plusIfEEEE10hipError_tPvRmT1_T2_T3_mT4_P12ihipStream_tbEUlT_E1_NS1_11comp_targetILNS1_3genE5ELNS1_11target_archE942ELNS1_3gpuE9ELNS1_3repE0EEENS1_30default_config_static_selectorELNS0_4arch9wavefront6targetE1EEEvSM_
; %bb.0:
	.section	.rodata,"a",@progbits
	.p2align	6, 0x0
	.amdhsa_kernel _ZN7rocprim17ROCPRIM_400000_NS6detail17trampoline_kernelINS0_14default_configENS1_22reduce_config_selectorIfEEZNS1_11reduce_implILb1ES3_N6thrust23THRUST_200600_302600_NS11hip_rocprim26transform_input_iterator_tIfNS8_17counting_iteratorIiNS8_11use_defaultESC_SC_EE11estimate_piEEPffNS8_4plusIfEEEE10hipError_tPvRmT1_T2_T3_mT4_P12ihipStream_tbEUlT_E1_NS1_11comp_targetILNS1_3genE5ELNS1_11target_archE942ELNS1_3gpuE9ELNS1_3repE0EEENS1_30default_config_static_selectorELNS0_4arch9wavefront6targetE1EEEvSM_
		.amdhsa_group_segment_fixed_size 0
		.amdhsa_private_segment_fixed_size 0
		.amdhsa_kernarg_size 40
		.amdhsa_user_sgpr_count 6
		.amdhsa_user_sgpr_private_segment_buffer 1
		.amdhsa_user_sgpr_dispatch_ptr 0
		.amdhsa_user_sgpr_queue_ptr 0
		.amdhsa_user_sgpr_kernarg_segment_ptr 1
		.amdhsa_user_sgpr_dispatch_id 0
		.amdhsa_user_sgpr_flat_scratch_init 0
		.amdhsa_user_sgpr_private_segment_size 0
		.amdhsa_uses_dynamic_stack 0
		.amdhsa_system_sgpr_private_segment_wavefront_offset 0
		.amdhsa_system_sgpr_workgroup_id_x 1
		.amdhsa_system_sgpr_workgroup_id_y 0
		.amdhsa_system_sgpr_workgroup_id_z 0
		.amdhsa_system_sgpr_workgroup_info 0
		.amdhsa_system_vgpr_workitem_id 0
		.amdhsa_next_free_vgpr 1
		.amdhsa_next_free_sgpr 0
		.amdhsa_reserve_vcc 0
		.amdhsa_reserve_flat_scratch 0
		.amdhsa_float_round_mode_32 0
		.amdhsa_float_round_mode_16_64 0
		.amdhsa_float_denorm_mode_32 3
		.amdhsa_float_denorm_mode_16_64 3
		.amdhsa_dx10_clamp 1
		.amdhsa_ieee_mode 1
		.amdhsa_fp16_overflow 0
		.amdhsa_exception_fp_ieee_invalid_op 0
		.amdhsa_exception_fp_denorm_src 0
		.amdhsa_exception_fp_ieee_div_zero 0
		.amdhsa_exception_fp_ieee_overflow 0
		.amdhsa_exception_fp_ieee_underflow 0
		.amdhsa_exception_fp_ieee_inexact 0
		.amdhsa_exception_int_div_zero 0
	.end_amdhsa_kernel
	.section	.text._ZN7rocprim17ROCPRIM_400000_NS6detail17trampoline_kernelINS0_14default_configENS1_22reduce_config_selectorIfEEZNS1_11reduce_implILb1ES3_N6thrust23THRUST_200600_302600_NS11hip_rocprim26transform_input_iterator_tIfNS8_17counting_iteratorIiNS8_11use_defaultESC_SC_EE11estimate_piEEPffNS8_4plusIfEEEE10hipError_tPvRmT1_T2_T3_mT4_P12ihipStream_tbEUlT_E1_NS1_11comp_targetILNS1_3genE5ELNS1_11target_archE942ELNS1_3gpuE9ELNS1_3repE0EEENS1_30default_config_static_selectorELNS0_4arch9wavefront6targetE1EEEvSM_,"axG",@progbits,_ZN7rocprim17ROCPRIM_400000_NS6detail17trampoline_kernelINS0_14default_configENS1_22reduce_config_selectorIfEEZNS1_11reduce_implILb1ES3_N6thrust23THRUST_200600_302600_NS11hip_rocprim26transform_input_iterator_tIfNS8_17counting_iteratorIiNS8_11use_defaultESC_SC_EE11estimate_piEEPffNS8_4plusIfEEEE10hipError_tPvRmT1_T2_T3_mT4_P12ihipStream_tbEUlT_E1_NS1_11comp_targetILNS1_3genE5ELNS1_11target_archE942ELNS1_3gpuE9ELNS1_3repE0EEENS1_30default_config_static_selectorELNS0_4arch9wavefront6targetE1EEEvSM_,comdat
.Lfunc_end28:
	.size	_ZN7rocprim17ROCPRIM_400000_NS6detail17trampoline_kernelINS0_14default_configENS1_22reduce_config_selectorIfEEZNS1_11reduce_implILb1ES3_N6thrust23THRUST_200600_302600_NS11hip_rocprim26transform_input_iterator_tIfNS8_17counting_iteratorIiNS8_11use_defaultESC_SC_EE11estimate_piEEPffNS8_4plusIfEEEE10hipError_tPvRmT1_T2_T3_mT4_P12ihipStream_tbEUlT_E1_NS1_11comp_targetILNS1_3genE5ELNS1_11target_archE942ELNS1_3gpuE9ELNS1_3repE0EEENS1_30default_config_static_selectorELNS0_4arch9wavefront6targetE1EEEvSM_, .Lfunc_end28-_ZN7rocprim17ROCPRIM_400000_NS6detail17trampoline_kernelINS0_14default_configENS1_22reduce_config_selectorIfEEZNS1_11reduce_implILb1ES3_N6thrust23THRUST_200600_302600_NS11hip_rocprim26transform_input_iterator_tIfNS8_17counting_iteratorIiNS8_11use_defaultESC_SC_EE11estimate_piEEPffNS8_4plusIfEEEE10hipError_tPvRmT1_T2_T3_mT4_P12ihipStream_tbEUlT_E1_NS1_11comp_targetILNS1_3genE5ELNS1_11target_archE942ELNS1_3gpuE9ELNS1_3repE0EEENS1_30default_config_static_selectorELNS0_4arch9wavefront6targetE1EEEvSM_
                                        ; -- End function
	.set _ZN7rocprim17ROCPRIM_400000_NS6detail17trampoline_kernelINS0_14default_configENS1_22reduce_config_selectorIfEEZNS1_11reduce_implILb1ES3_N6thrust23THRUST_200600_302600_NS11hip_rocprim26transform_input_iterator_tIfNS8_17counting_iteratorIiNS8_11use_defaultESC_SC_EE11estimate_piEEPffNS8_4plusIfEEEE10hipError_tPvRmT1_T2_T3_mT4_P12ihipStream_tbEUlT_E1_NS1_11comp_targetILNS1_3genE5ELNS1_11target_archE942ELNS1_3gpuE9ELNS1_3repE0EEENS1_30default_config_static_selectorELNS0_4arch9wavefront6targetE1EEEvSM_.num_vgpr, 0
	.set _ZN7rocprim17ROCPRIM_400000_NS6detail17trampoline_kernelINS0_14default_configENS1_22reduce_config_selectorIfEEZNS1_11reduce_implILb1ES3_N6thrust23THRUST_200600_302600_NS11hip_rocprim26transform_input_iterator_tIfNS8_17counting_iteratorIiNS8_11use_defaultESC_SC_EE11estimate_piEEPffNS8_4plusIfEEEE10hipError_tPvRmT1_T2_T3_mT4_P12ihipStream_tbEUlT_E1_NS1_11comp_targetILNS1_3genE5ELNS1_11target_archE942ELNS1_3gpuE9ELNS1_3repE0EEENS1_30default_config_static_selectorELNS0_4arch9wavefront6targetE1EEEvSM_.num_agpr, 0
	.set _ZN7rocprim17ROCPRIM_400000_NS6detail17trampoline_kernelINS0_14default_configENS1_22reduce_config_selectorIfEEZNS1_11reduce_implILb1ES3_N6thrust23THRUST_200600_302600_NS11hip_rocprim26transform_input_iterator_tIfNS8_17counting_iteratorIiNS8_11use_defaultESC_SC_EE11estimate_piEEPffNS8_4plusIfEEEE10hipError_tPvRmT1_T2_T3_mT4_P12ihipStream_tbEUlT_E1_NS1_11comp_targetILNS1_3genE5ELNS1_11target_archE942ELNS1_3gpuE9ELNS1_3repE0EEENS1_30default_config_static_selectorELNS0_4arch9wavefront6targetE1EEEvSM_.numbered_sgpr, 0
	.set _ZN7rocprim17ROCPRIM_400000_NS6detail17trampoline_kernelINS0_14default_configENS1_22reduce_config_selectorIfEEZNS1_11reduce_implILb1ES3_N6thrust23THRUST_200600_302600_NS11hip_rocprim26transform_input_iterator_tIfNS8_17counting_iteratorIiNS8_11use_defaultESC_SC_EE11estimate_piEEPffNS8_4plusIfEEEE10hipError_tPvRmT1_T2_T3_mT4_P12ihipStream_tbEUlT_E1_NS1_11comp_targetILNS1_3genE5ELNS1_11target_archE942ELNS1_3gpuE9ELNS1_3repE0EEENS1_30default_config_static_selectorELNS0_4arch9wavefront6targetE1EEEvSM_.num_named_barrier, 0
	.set _ZN7rocprim17ROCPRIM_400000_NS6detail17trampoline_kernelINS0_14default_configENS1_22reduce_config_selectorIfEEZNS1_11reduce_implILb1ES3_N6thrust23THRUST_200600_302600_NS11hip_rocprim26transform_input_iterator_tIfNS8_17counting_iteratorIiNS8_11use_defaultESC_SC_EE11estimate_piEEPffNS8_4plusIfEEEE10hipError_tPvRmT1_T2_T3_mT4_P12ihipStream_tbEUlT_E1_NS1_11comp_targetILNS1_3genE5ELNS1_11target_archE942ELNS1_3gpuE9ELNS1_3repE0EEENS1_30default_config_static_selectorELNS0_4arch9wavefront6targetE1EEEvSM_.private_seg_size, 0
	.set _ZN7rocprim17ROCPRIM_400000_NS6detail17trampoline_kernelINS0_14default_configENS1_22reduce_config_selectorIfEEZNS1_11reduce_implILb1ES3_N6thrust23THRUST_200600_302600_NS11hip_rocprim26transform_input_iterator_tIfNS8_17counting_iteratorIiNS8_11use_defaultESC_SC_EE11estimate_piEEPffNS8_4plusIfEEEE10hipError_tPvRmT1_T2_T3_mT4_P12ihipStream_tbEUlT_E1_NS1_11comp_targetILNS1_3genE5ELNS1_11target_archE942ELNS1_3gpuE9ELNS1_3repE0EEENS1_30default_config_static_selectorELNS0_4arch9wavefront6targetE1EEEvSM_.uses_vcc, 0
	.set _ZN7rocprim17ROCPRIM_400000_NS6detail17trampoline_kernelINS0_14default_configENS1_22reduce_config_selectorIfEEZNS1_11reduce_implILb1ES3_N6thrust23THRUST_200600_302600_NS11hip_rocprim26transform_input_iterator_tIfNS8_17counting_iteratorIiNS8_11use_defaultESC_SC_EE11estimate_piEEPffNS8_4plusIfEEEE10hipError_tPvRmT1_T2_T3_mT4_P12ihipStream_tbEUlT_E1_NS1_11comp_targetILNS1_3genE5ELNS1_11target_archE942ELNS1_3gpuE9ELNS1_3repE0EEENS1_30default_config_static_selectorELNS0_4arch9wavefront6targetE1EEEvSM_.uses_flat_scratch, 0
	.set _ZN7rocprim17ROCPRIM_400000_NS6detail17trampoline_kernelINS0_14default_configENS1_22reduce_config_selectorIfEEZNS1_11reduce_implILb1ES3_N6thrust23THRUST_200600_302600_NS11hip_rocprim26transform_input_iterator_tIfNS8_17counting_iteratorIiNS8_11use_defaultESC_SC_EE11estimate_piEEPffNS8_4plusIfEEEE10hipError_tPvRmT1_T2_T3_mT4_P12ihipStream_tbEUlT_E1_NS1_11comp_targetILNS1_3genE5ELNS1_11target_archE942ELNS1_3gpuE9ELNS1_3repE0EEENS1_30default_config_static_selectorELNS0_4arch9wavefront6targetE1EEEvSM_.has_dyn_sized_stack, 0
	.set _ZN7rocprim17ROCPRIM_400000_NS6detail17trampoline_kernelINS0_14default_configENS1_22reduce_config_selectorIfEEZNS1_11reduce_implILb1ES3_N6thrust23THRUST_200600_302600_NS11hip_rocprim26transform_input_iterator_tIfNS8_17counting_iteratorIiNS8_11use_defaultESC_SC_EE11estimate_piEEPffNS8_4plusIfEEEE10hipError_tPvRmT1_T2_T3_mT4_P12ihipStream_tbEUlT_E1_NS1_11comp_targetILNS1_3genE5ELNS1_11target_archE942ELNS1_3gpuE9ELNS1_3repE0EEENS1_30default_config_static_selectorELNS0_4arch9wavefront6targetE1EEEvSM_.has_recursion, 0
	.set _ZN7rocprim17ROCPRIM_400000_NS6detail17trampoline_kernelINS0_14default_configENS1_22reduce_config_selectorIfEEZNS1_11reduce_implILb1ES3_N6thrust23THRUST_200600_302600_NS11hip_rocprim26transform_input_iterator_tIfNS8_17counting_iteratorIiNS8_11use_defaultESC_SC_EE11estimate_piEEPffNS8_4plusIfEEEE10hipError_tPvRmT1_T2_T3_mT4_P12ihipStream_tbEUlT_E1_NS1_11comp_targetILNS1_3genE5ELNS1_11target_archE942ELNS1_3gpuE9ELNS1_3repE0EEENS1_30default_config_static_selectorELNS0_4arch9wavefront6targetE1EEEvSM_.has_indirect_call, 0
	.section	.AMDGPU.csdata,"",@progbits
; Kernel info:
; codeLenInByte = 0
; TotalNumSgprs: 4
; NumVgprs: 0
; ScratchSize: 0
; MemoryBound: 0
; FloatMode: 240
; IeeeMode: 1
; LDSByteSize: 0 bytes/workgroup (compile time only)
; SGPRBlocks: 0
; VGPRBlocks: 0
; NumSGPRsForWavesPerEU: 4
; NumVGPRsForWavesPerEU: 1
; Occupancy: 10
; WaveLimiterHint : 0
; COMPUTE_PGM_RSRC2:SCRATCH_EN: 0
; COMPUTE_PGM_RSRC2:USER_SGPR: 6
; COMPUTE_PGM_RSRC2:TRAP_HANDLER: 0
; COMPUTE_PGM_RSRC2:TGID_X_EN: 1
; COMPUTE_PGM_RSRC2:TGID_Y_EN: 0
; COMPUTE_PGM_RSRC2:TGID_Z_EN: 0
; COMPUTE_PGM_RSRC2:TIDIG_COMP_CNT: 0
	.section	.text._ZN7rocprim17ROCPRIM_400000_NS6detail17trampoline_kernelINS0_14default_configENS1_22reduce_config_selectorIfEEZNS1_11reduce_implILb1ES3_N6thrust23THRUST_200600_302600_NS11hip_rocprim26transform_input_iterator_tIfNS8_17counting_iteratorIiNS8_11use_defaultESC_SC_EE11estimate_piEEPffNS8_4plusIfEEEE10hipError_tPvRmT1_T2_T3_mT4_P12ihipStream_tbEUlT_E1_NS1_11comp_targetILNS1_3genE4ELNS1_11target_archE910ELNS1_3gpuE8ELNS1_3repE0EEENS1_30default_config_static_selectorELNS0_4arch9wavefront6targetE1EEEvSM_,"axG",@progbits,_ZN7rocprim17ROCPRIM_400000_NS6detail17trampoline_kernelINS0_14default_configENS1_22reduce_config_selectorIfEEZNS1_11reduce_implILb1ES3_N6thrust23THRUST_200600_302600_NS11hip_rocprim26transform_input_iterator_tIfNS8_17counting_iteratorIiNS8_11use_defaultESC_SC_EE11estimate_piEEPffNS8_4plusIfEEEE10hipError_tPvRmT1_T2_T3_mT4_P12ihipStream_tbEUlT_E1_NS1_11comp_targetILNS1_3genE4ELNS1_11target_archE910ELNS1_3gpuE8ELNS1_3repE0EEENS1_30default_config_static_selectorELNS0_4arch9wavefront6targetE1EEEvSM_,comdat
	.protected	_ZN7rocprim17ROCPRIM_400000_NS6detail17trampoline_kernelINS0_14default_configENS1_22reduce_config_selectorIfEEZNS1_11reduce_implILb1ES3_N6thrust23THRUST_200600_302600_NS11hip_rocprim26transform_input_iterator_tIfNS8_17counting_iteratorIiNS8_11use_defaultESC_SC_EE11estimate_piEEPffNS8_4plusIfEEEE10hipError_tPvRmT1_T2_T3_mT4_P12ihipStream_tbEUlT_E1_NS1_11comp_targetILNS1_3genE4ELNS1_11target_archE910ELNS1_3gpuE8ELNS1_3repE0EEENS1_30default_config_static_selectorELNS0_4arch9wavefront6targetE1EEEvSM_ ; -- Begin function _ZN7rocprim17ROCPRIM_400000_NS6detail17trampoline_kernelINS0_14default_configENS1_22reduce_config_selectorIfEEZNS1_11reduce_implILb1ES3_N6thrust23THRUST_200600_302600_NS11hip_rocprim26transform_input_iterator_tIfNS8_17counting_iteratorIiNS8_11use_defaultESC_SC_EE11estimate_piEEPffNS8_4plusIfEEEE10hipError_tPvRmT1_T2_T3_mT4_P12ihipStream_tbEUlT_E1_NS1_11comp_targetILNS1_3genE4ELNS1_11target_archE910ELNS1_3gpuE8ELNS1_3repE0EEENS1_30default_config_static_selectorELNS0_4arch9wavefront6targetE1EEEvSM_
	.globl	_ZN7rocprim17ROCPRIM_400000_NS6detail17trampoline_kernelINS0_14default_configENS1_22reduce_config_selectorIfEEZNS1_11reduce_implILb1ES3_N6thrust23THRUST_200600_302600_NS11hip_rocprim26transform_input_iterator_tIfNS8_17counting_iteratorIiNS8_11use_defaultESC_SC_EE11estimate_piEEPffNS8_4plusIfEEEE10hipError_tPvRmT1_T2_T3_mT4_P12ihipStream_tbEUlT_E1_NS1_11comp_targetILNS1_3genE4ELNS1_11target_archE910ELNS1_3gpuE8ELNS1_3repE0EEENS1_30default_config_static_selectorELNS0_4arch9wavefront6targetE1EEEvSM_
	.p2align	8
	.type	_ZN7rocprim17ROCPRIM_400000_NS6detail17trampoline_kernelINS0_14default_configENS1_22reduce_config_selectorIfEEZNS1_11reduce_implILb1ES3_N6thrust23THRUST_200600_302600_NS11hip_rocprim26transform_input_iterator_tIfNS8_17counting_iteratorIiNS8_11use_defaultESC_SC_EE11estimate_piEEPffNS8_4plusIfEEEE10hipError_tPvRmT1_T2_T3_mT4_P12ihipStream_tbEUlT_E1_NS1_11comp_targetILNS1_3genE4ELNS1_11target_archE910ELNS1_3gpuE8ELNS1_3repE0EEENS1_30default_config_static_selectorELNS0_4arch9wavefront6targetE1EEEvSM_,@function
_ZN7rocprim17ROCPRIM_400000_NS6detail17trampoline_kernelINS0_14default_configENS1_22reduce_config_selectorIfEEZNS1_11reduce_implILb1ES3_N6thrust23THRUST_200600_302600_NS11hip_rocprim26transform_input_iterator_tIfNS8_17counting_iteratorIiNS8_11use_defaultESC_SC_EE11estimate_piEEPffNS8_4plusIfEEEE10hipError_tPvRmT1_T2_T3_mT4_P12ihipStream_tbEUlT_E1_NS1_11comp_targetILNS1_3genE4ELNS1_11target_archE910ELNS1_3gpuE8ELNS1_3repE0EEENS1_30default_config_static_selectorELNS0_4arch9wavefront6targetE1EEEvSM_: ; @_ZN7rocprim17ROCPRIM_400000_NS6detail17trampoline_kernelINS0_14default_configENS1_22reduce_config_selectorIfEEZNS1_11reduce_implILb1ES3_N6thrust23THRUST_200600_302600_NS11hip_rocprim26transform_input_iterator_tIfNS8_17counting_iteratorIiNS8_11use_defaultESC_SC_EE11estimate_piEEPffNS8_4plusIfEEEE10hipError_tPvRmT1_T2_T3_mT4_P12ihipStream_tbEUlT_E1_NS1_11comp_targetILNS1_3genE4ELNS1_11target_archE910ELNS1_3gpuE8ELNS1_3repE0EEENS1_30default_config_static_selectorELNS0_4arch9wavefront6targetE1EEEvSM_
; %bb.0:
	.section	.rodata,"a",@progbits
	.p2align	6, 0x0
	.amdhsa_kernel _ZN7rocprim17ROCPRIM_400000_NS6detail17trampoline_kernelINS0_14default_configENS1_22reduce_config_selectorIfEEZNS1_11reduce_implILb1ES3_N6thrust23THRUST_200600_302600_NS11hip_rocprim26transform_input_iterator_tIfNS8_17counting_iteratorIiNS8_11use_defaultESC_SC_EE11estimate_piEEPffNS8_4plusIfEEEE10hipError_tPvRmT1_T2_T3_mT4_P12ihipStream_tbEUlT_E1_NS1_11comp_targetILNS1_3genE4ELNS1_11target_archE910ELNS1_3gpuE8ELNS1_3repE0EEENS1_30default_config_static_selectorELNS0_4arch9wavefront6targetE1EEEvSM_
		.amdhsa_group_segment_fixed_size 0
		.amdhsa_private_segment_fixed_size 0
		.amdhsa_kernarg_size 40
		.amdhsa_user_sgpr_count 6
		.amdhsa_user_sgpr_private_segment_buffer 1
		.amdhsa_user_sgpr_dispatch_ptr 0
		.amdhsa_user_sgpr_queue_ptr 0
		.amdhsa_user_sgpr_kernarg_segment_ptr 1
		.amdhsa_user_sgpr_dispatch_id 0
		.amdhsa_user_sgpr_flat_scratch_init 0
		.amdhsa_user_sgpr_private_segment_size 0
		.amdhsa_uses_dynamic_stack 0
		.amdhsa_system_sgpr_private_segment_wavefront_offset 0
		.amdhsa_system_sgpr_workgroup_id_x 1
		.amdhsa_system_sgpr_workgroup_id_y 0
		.amdhsa_system_sgpr_workgroup_id_z 0
		.amdhsa_system_sgpr_workgroup_info 0
		.amdhsa_system_vgpr_workitem_id 0
		.amdhsa_next_free_vgpr 1
		.amdhsa_next_free_sgpr 0
		.amdhsa_reserve_vcc 0
		.amdhsa_reserve_flat_scratch 0
		.amdhsa_float_round_mode_32 0
		.amdhsa_float_round_mode_16_64 0
		.amdhsa_float_denorm_mode_32 3
		.amdhsa_float_denorm_mode_16_64 3
		.amdhsa_dx10_clamp 1
		.amdhsa_ieee_mode 1
		.amdhsa_fp16_overflow 0
		.amdhsa_exception_fp_ieee_invalid_op 0
		.amdhsa_exception_fp_denorm_src 0
		.amdhsa_exception_fp_ieee_div_zero 0
		.amdhsa_exception_fp_ieee_overflow 0
		.amdhsa_exception_fp_ieee_underflow 0
		.amdhsa_exception_fp_ieee_inexact 0
		.amdhsa_exception_int_div_zero 0
	.end_amdhsa_kernel
	.section	.text._ZN7rocprim17ROCPRIM_400000_NS6detail17trampoline_kernelINS0_14default_configENS1_22reduce_config_selectorIfEEZNS1_11reduce_implILb1ES3_N6thrust23THRUST_200600_302600_NS11hip_rocprim26transform_input_iterator_tIfNS8_17counting_iteratorIiNS8_11use_defaultESC_SC_EE11estimate_piEEPffNS8_4plusIfEEEE10hipError_tPvRmT1_T2_T3_mT4_P12ihipStream_tbEUlT_E1_NS1_11comp_targetILNS1_3genE4ELNS1_11target_archE910ELNS1_3gpuE8ELNS1_3repE0EEENS1_30default_config_static_selectorELNS0_4arch9wavefront6targetE1EEEvSM_,"axG",@progbits,_ZN7rocprim17ROCPRIM_400000_NS6detail17trampoline_kernelINS0_14default_configENS1_22reduce_config_selectorIfEEZNS1_11reduce_implILb1ES3_N6thrust23THRUST_200600_302600_NS11hip_rocprim26transform_input_iterator_tIfNS8_17counting_iteratorIiNS8_11use_defaultESC_SC_EE11estimate_piEEPffNS8_4plusIfEEEE10hipError_tPvRmT1_T2_T3_mT4_P12ihipStream_tbEUlT_E1_NS1_11comp_targetILNS1_3genE4ELNS1_11target_archE910ELNS1_3gpuE8ELNS1_3repE0EEENS1_30default_config_static_selectorELNS0_4arch9wavefront6targetE1EEEvSM_,comdat
.Lfunc_end29:
	.size	_ZN7rocprim17ROCPRIM_400000_NS6detail17trampoline_kernelINS0_14default_configENS1_22reduce_config_selectorIfEEZNS1_11reduce_implILb1ES3_N6thrust23THRUST_200600_302600_NS11hip_rocprim26transform_input_iterator_tIfNS8_17counting_iteratorIiNS8_11use_defaultESC_SC_EE11estimate_piEEPffNS8_4plusIfEEEE10hipError_tPvRmT1_T2_T3_mT4_P12ihipStream_tbEUlT_E1_NS1_11comp_targetILNS1_3genE4ELNS1_11target_archE910ELNS1_3gpuE8ELNS1_3repE0EEENS1_30default_config_static_selectorELNS0_4arch9wavefront6targetE1EEEvSM_, .Lfunc_end29-_ZN7rocprim17ROCPRIM_400000_NS6detail17trampoline_kernelINS0_14default_configENS1_22reduce_config_selectorIfEEZNS1_11reduce_implILb1ES3_N6thrust23THRUST_200600_302600_NS11hip_rocprim26transform_input_iterator_tIfNS8_17counting_iteratorIiNS8_11use_defaultESC_SC_EE11estimate_piEEPffNS8_4plusIfEEEE10hipError_tPvRmT1_T2_T3_mT4_P12ihipStream_tbEUlT_E1_NS1_11comp_targetILNS1_3genE4ELNS1_11target_archE910ELNS1_3gpuE8ELNS1_3repE0EEENS1_30default_config_static_selectorELNS0_4arch9wavefront6targetE1EEEvSM_
                                        ; -- End function
	.set _ZN7rocprim17ROCPRIM_400000_NS6detail17trampoline_kernelINS0_14default_configENS1_22reduce_config_selectorIfEEZNS1_11reduce_implILb1ES3_N6thrust23THRUST_200600_302600_NS11hip_rocprim26transform_input_iterator_tIfNS8_17counting_iteratorIiNS8_11use_defaultESC_SC_EE11estimate_piEEPffNS8_4plusIfEEEE10hipError_tPvRmT1_T2_T3_mT4_P12ihipStream_tbEUlT_E1_NS1_11comp_targetILNS1_3genE4ELNS1_11target_archE910ELNS1_3gpuE8ELNS1_3repE0EEENS1_30default_config_static_selectorELNS0_4arch9wavefront6targetE1EEEvSM_.num_vgpr, 0
	.set _ZN7rocprim17ROCPRIM_400000_NS6detail17trampoline_kernelINS0_14default_configENS1_22reduce_config_selectorIfEEZNS1_11reduce_implILb1ES3_N6thrust23THRUST_200600_302600_NS11hip_rocprim26transform_input_iterator_tIfNS8_17counting_iteratorIiNS8_11use_defaultESC_SC_EE11estimate_piEEPffNS8_4plusIfEEEE10hipError_tPvRmT1_T2_T3_mT4_P12ihipStream_tbEUlT_E1_NS1_11comp_targetILNS1_3genE4ELNS1_11target_archE910ELNS1_3gpuE8ELNS1_3repE0EEENS1_30default_config_static_selectorELNS0_4arch9wavefront6targetE1EEEvSM_.num_agpr, 0
	.set _ZN7rocprim17ROCPRIM_400000_NS6detail17trampoline_kernelINS0_14default_configENS1_22reduce_config_selectorIfEEZNS1_11reduce_implILb1ES3_N6thrust23THRUST_200600_302600_NS11hip_rocprim26transform_input_iterator_tIfNS8_17counting_iteratorIiNS8_11use_defaultESC_SC_EE11estimate_piEEPffNS8_4plusIfEEEE10hipError_tPvRmT1_T2_T3_mT4_P12ihipStream_tbEUlT_E1_NS1_11comp_targetILNS1_3genE4ELNS1_11target_archE910ELNS1_3gpuE8ELNS1_3repE0EEENS1_30default_config_static_selectorELNS0_4arch9wavefront6targetE1EEEvSM_.numbered_sgpr, 0
	.set _ZN7rocprim17ROCPRIM_400000_NS6detail17trampoline_kernelINS0_14default_configENS1_22reduce_config_selectorIfEEZNS1_11reduce_implILb1ES3_N6thrust23THRUST_200600_302600_NS11hip_rocprim26transform_input_iterator_tIfNS8_17counting_iteratorIiNS8_11use_defaultESC_SC_EE11estimate_piEEPffNS8_4plusIfEEEE10hipError_tPvRmT1_T2_T3_mT4_P12ihipStream_tbEUlT_E1_NS1_11comp_targetILNS1_3genE4ELNS1_11target_archE910ELNS1_3gpuE8ELNS1_3repE0EEENS1_30default_config_static_selectorELNS0_4arch9wavefront6targetE1EEEvSM_.num_named_barrier, 0
	.set _ZN7rocprim17ROCPRIM_400000_NS6detail17trampoline_kernelINS0_14default_configENS1_22reduce_config_selectorIfEEZNS1_11reduce_implILb1ES3_N6thrust23THRUST_200600_302600_NS11hip_rocprim26transform_input_iterator_tIfNS8_17counting_iteratorIiNS8_11use_defaultESC_SC_EE11estimate_piEEPffNS8_4plusIfEEEE10hipError_tPvRmT1_T2_T3_mT4_P12ihipStream_tbEUlT_E1_NS1_11comp_targetILNS1_3genE4ELNS1_11target_archE910ELNS1_3gpuE8ELNS1_3repE0EEENS1_30default_config_static_selectorELNS0_4arch9wavefront6targetE1EEEvSM_.private_seg_size, 0
	.set _ZN7rocprim17ROCPRIM_400000_NS6detail17trampoline_kernelINS0_14default_configENS1_22reduce_config_selectorIfEEZNS1_11reduce_implILb1ES3_N6thrust23THRUST_200600_302600_NS11hip_rocprim26transform_input_iterator_tIfNS8_17counting_iteratorIiNS8_11use_defaultESC_SC_EE11estimate_piEEPffNS8_4plusIfEEEE10hipError_tPvRmT1_T2_T3_mT4_P12ihipStream_tbEUlT_E1_NS1_11comp_targetILNS1_3genE4ELNS1_11target_archE910ELNS1_3gpuE8ELNS1_3repE0EEENS1_30default_config_static_selectorELNS0_4arch9wavefront6targetE1EEEvSM_.uses_vcc, 0
	.set _ZN7rocprim17ROCPRIM_400000_NS6detail17trampoline_kernelINS0_14default_configENS1_22reduce_config_selectorIfEEZNS1_11reduce_implILb1ES3_N6thrust23THRUST_200600_302600_NS11hip_rocprim26transform_input_iterator_tIfNS8_17counting_iteratorIiNS8_11use_defaultESC_SC_EE11estimate_piEEPffNS8_4plusIfEEEE10hipError_tPvRmT1_T2_T3_mT4_P12ihipStream_tbEUlT_E1_NS1_11comp_targetILNS1_3genE4ELNS1_11target_archE910ELNS1_3gpuE8ELNS1_3repE0EEENS1_30default_config_static_selectorELNS0_4arch9wavefront6targetE1EEEvSM_.uses_flat_scratch, 0
	.set _ZN7rocprim17ROCPRIM_400000_NS6detail17trampoline_kernelINS0_14default_configENS1_22reduce_config_selectorIfEEZNS1_11reduce_implILb1ES3_N6thrust23THRUST_200600_302600_NS11hip_rocprim26transform_input_iterator_tIfNS8_17counting_iteratorIiNS8_11use_defaultESC_SC_EE11estimate_piEEPffNS8_4plusIfEEEE10hipError_tPvRmT1_T2_T3_mT4_P12ihipStream_tbEUlT_E1_NS1_11comp_targetILNS1_3genE4ELNS1_11target_archE910ELNS1_3gpuE8ELNS1_3repE0EEENS1_30default_config_static_selectorELNS0_4arch9wavefront6targetE1EEEvSM_.has_dyn_sized_stack, 0
	.set _ZN7rocprim17ROCPRIM_400000_NS6detail17trampoline_kernelINS0_14default_configENS1_22reduce_config_selectorIfEEZNS1_11reduce_implILb1ES3_N6thrust23THRUST_200600_302600_NS11hip_rocprim26transform_input_iterator_tIfNS8_17counting_iteratorIiNS8_11use_defaultESC_SC_EE11estimate_piEEPffNS8_4plusIfEEEE10hipError_tPvRmT1_T2_T3_mT4_P12ihipStream_tbEUlT_E1_NS1_11comp_targetILNS1_3genE4ELNS1_11target_archE910ELNS1_3gpuE8ELNS1_3repE0EEENS1_30default_config_static_selectorELNS0_4arch9wavefront6targetE1EEEvSM_.has_recursion, 0
	.set _ZN7rocprim17ROCPRIM_400000_NS6detail17trampoline_kernelINS0_14default_configENS1_22reduce_config_selectorIfEEZNS1_11reduce_implILb1ES3_N6thrust23THRUST_200600_302600_NS11hip_rocprim26transform_input_iterator_tIfNS8_17counting_iteratorIiNS8_11use_defaultESC_SC_EE11estimate_piEEPffNS8_4plusIfEEEE10hipError_tPvRmT1_T2_T3_mT4_P12ihipStream_tbEUlT_E1_NS1_11comp_targetILNS1_3genE4ELNS1_11target_archE910ELNS1_3gpuE8ELNS1_3repE0EEENS1_30default_config_static_selectorELNS0_4arch9wavefront6targetE1EEEvSM_.has_indirect_call, 0
	.section	.AMDGPU.csdata,"",@progbits
; Kernel info:
; codeLenInByte = 0
; TotalNumSgprs: 4
; NumVgprs: 0
; ScratchSize: 0
; MemoryBound: 0
; FloatMode: 240
; IeeeMode: 1
; LDSByteSize: 0 bytes/workgroup (compile time only)
; SGPRBlocks: 0
; VGPRBlocks: 0
; NumSGPRsForWavesPerEU: 4
; NumVGPRsForWavesPerEU: 1
; Occupancy: 10
; WaveLimiterHint : 0
; COMPUTE_PGM_RSRC2:SCRATCH_EN: 0
; COMPUTE_PGM_RSRC2:USER_SGPR: 6
; COMPUTE_PGM_RSRC2:TRAP_HANDLER: 0
; COMPUTE_PGM_RSRC2:TGID_X_EN: 1
; COMPUTE_PGM_RSRC2:TGID_Y_EN: 0
; COMPUTE_PGM_RSRC2:TGID_Z_EN: 0
; COMPUTE_PGM_RSRC2:TIDIG_COMP_CNT: 0
	.section	.text._ZN7rocprim17ROCPRIM_400000_NS6detail17trampoline_kernelINS0_14default_configENS1_22reduce_config_selectorIfEEZNS1_11reduce_implILb1ES3_N6thrust23THRUST_200600_302600_NS11hip_rocprim26transform_input_iterator_tIfNS8_17counting_iteratorIiNS8_11use_defaultESC_SC_EE11estimate_piEEPffNS8_4plusIfEEEE10hipError_tPvRmT1_T2_T3_mT4_P12ihipStream_tbEUlT_E1_NS1_11comp_targetILNS1_3genE3ELNS1_11target_archE908ELNS1_3gpuE7ELNS1_3repE0EEENS1_30default_config_static_selectorELNS0_4arch9wavefront6targetE1EEEvSM_,"axG",@progbits,_ZN7rocprim17ROCPRIM_400000_NS6detail17trampoline_kernelINS0_14default_configENS1_22reduce_config_selectorIfEEZNS1_11reduce_implILb1ES3_N6thrust23THRUST_200600_302600_NS11hip_rocprim26transform_input_iterator_tIfNS8_17counting_iteratorIiNS8_11use_defaultESC_SC_EE11estimate_piEEPffNS8_4plusIfEEEE10hipError_tPvRmT1_T2_T3_mT4_P12ihipStream_tbEUlT_E1_NS1_11comp_targetILNS1_3genE3ELNS1_11target_archE908ELNS1_3gpuE7ELNS1_3repE0EEENS1_30default_config_static_selectorELNS0_4arch9wavefront6targetE1EEEvSM_,comdat
	.protected	_ZN7rocprim17ROCPRIM_400000_NS6detail17trampoline_kernelINS0_14default_configENS1_22reduce_config_selectorIfEEZNS1_11reduce_implILb1ES3_N6thrust23THRUST_200600_302600_NS11hip_rocprim26transform_input_iterator_tIfNS8_17counting_iteratorIiNS8_11use_defaultESC_SC_EE11estimate_piEEPffNS8_4plusIfEEEE10hipError_tPvRmT1_T2_T3_mT4_P12ihipStream_tbEUlT_E1_NS1_11comp_targetILNS1_3genE3ELNS1_11target_archE908ELNS1_3gpuE7ELNS1_3repE0EEENS1_30default_config_static_selectorELNS0_4arch9wavefront6targetE1EEEvSM_ ; -- Begin function _ZN7rocprim17ROCPRIM_400000_NS6detail17trampoline_kernelINS0_14default_configENS1_22reduce_config_selectorIfEEZNS1_11reduce_implILb1ES3_N6thrust23THRUST_200600_302600_NS11hip_rocprim26transform_input_iterator_tIfNS8_17counting_iteratorIiNS8_11use_defaultESC_SC_EE11estimate_piEEPffNS8_4plusIfEEEE10hipError_tPvRmT1_T2_T3_mT4_P12ihipStream_tbEUlT_E1_NS1_11comp_targetILNS1_3genE3ELNS1_11target_archE908ELNS1_3gpuE7ELNS1_3repE0EEENS1_30default_config_static_selectorELNS0_4arch9wavefront6targetE1EEEvSM_
	.globl	_ZN7rocprim17ROCPRIM_400000_NS6detail17trampoline_kernelINS0_14default_configENS1_22reduce_config_selectorIfEEZNS1_11reduce_implILb1ES3_N6thrust23THRUST_200600_302600_NS11hip_rocprim26transform_input_iterator_tIfNS8_17counting_iteratorIiNS8_11use_defaultESC_SC_EE11estimate_piEEPffNS8_4plusIfEEEE10hipError_tPvRmT1_T2_T3_mT4_P12ihipStream_tbEUlT_E1_NS1_11comp_targetILNS1_3genE3ELNS1_11target_archE908ELNS1_3gpuE7ELNS1_3repE0EEENS1_30default_config_static_selectorELNS0_4arch9wavefront6targetE1EEEvSM_
	.p2align	8
	.type	_ZN7rocprim17ROCPRIM_400000_NS6detail17trampoline_kernelINS0_14default_configENS1_22reduce_config_selectorIfEEZNS1_11reduce_implILb1ES3_N6thrust23THRUST_200600_302600_NS11hip_rocprim26transform_input_iterator_tIfNS8_17counting_iteratorIiNS8_11use_defaultESC_SC_EE11estimate_piEEPffNS8_4plusIfEEEE10hipError_tPvRmT1_T2_T3_mT4_P12ihipStream_tbEUlT_E1_NS1_11comp_targetILNS1_3genE3ELNS1_11target_archE908ELNS1_3gpuE7ELNS1_3repE0EEENS1_30default_config_static_selectorELNS0_4arch9wavefront6targetE1EEEvSM_,@function
_ZN7rocprim17ROCPRIM_400000_NS6detail17trampoline_kernelINS0_14default_configENS1_22reduce_config_selectorIfEEZNS1_11reduce_implILb1ES3_N6thrust23THRUST_200600_302600_NS11hip_rocprim26transform_input_iterator_tIfNS8_17counting_iteratorIiNS8_11use_defaultESC_SC_EE11estimate_piEEPffNS8_4plusIfEEEE10hipError_tPvRmT1_T2_T3_mT4_P12ihipStream_tbEUlT_E1_NS1_11comp_targetILNS1_3genE3ELNS1_11target_archE908ELNS1_3gpuE7ELNS1_3repE0EEENS1_30default_config_static_selectorELNS0_4arch9wavefront6targetE1EEEvSM_: ; @_ZN7rocprim17ROCPRIM_400000_NS6detail17trampoline_kernelINS0_14default_configENS1_22reduce_config_selectorIfEEZNS1_11reduce_implILb1ES3_N6thrust23THRUST_200600_302600_NS11hip_rocprim26transform_input_iterator_tIfNS8_17counting_iteratorIiNS8_11use_defaultESC_SC_EE11estimate_piEEPffNS8_4plusIfEEEE10hipError_tPvRmT1_T2_T3_mT4_P12ihipStream_tbEUlT_E1_NS1_11comp_targetILNS1_3genE3ELNS1_11target_archE908ELNS1_3gpuE7ELNS1_3repE0EEENS1_30default_config_static_selectorELNS0_4arch9wavefront6targetE1EEEvSM_
; %bb.0:
	.section	.rodata,"a",@progbits
	.p2align	6, 0x0
	.amdhsa_kernel _ZN7rocprim17ROCPRIM_400000_NS6detail17trampoline_kernelINS0_14default_configENS1_22reduce_config_selectorIfEEZNS1_11reduce_implILb1ES3_N6thrust23THRUST_200600_302600_NS11hip_rocprim26transform_input_iterator_tIfNS8_17counting_iteratorIiNS8_11use_defaultESC_SC_EE11estimate_piEEPffNS8_4plusIfEEEE10hipError_tPvRmT1_T2_T3_mT4_P12ihipStream_tbEUlT_E1_NS1_11comp_targetILNS1_3genE3ELNS1_11target_archE908ELNS1_3gpuE7ELNS1_3repE0EEENS1_30default_config_static_selectorELNS0_4arch9wavefront6targetE1EEEvSM_
		.amdhsa_group_segment_fixed_size 0
		.amdhsa_private_segment_fixed_size 0
		.amdhsa_kernarg_size 40
		.amdhsa_user_sgpr_count 6
		.amdhsa_user_sgpr_private_segment_buffer 1
		.amdhsa_user_sgpr_dispatch_ptr 0
		.amdhsa_user_sgpr_queue_ptr 0
		.amdhsa_user_sgpr_kernarg_segment_ptr 1
		.amdhsa_user_sgpr_dispatch_id 0
		.amdhsa_user_sgpr_flat_scratch_init 0
		.amdhsa_user_sgpr_private_segment_size 0
		.amdhsa_uses_dynamic_stack 0
		.amdhsa_system_sgpr_private_segment_wavefront_offset 0
		.amdhsa_system_sgpr_workgroup_id_x 1
		.amdhsa_system_sgpr_workgroup_id_y 0
		.amdhsa_system_sgpr_workgroup_id_z 0
		.amdhsa_system_sgpr_workgroup_info 0
		.amdhsa_system_vgpr_workitem_id 0
		.amdhsa_next_free_vgpr 1
		.amdhsa_next_free_sgpr 0
		.amdhsa_reserve_vcc 0
		.amdhsa_reserve_flat_scratch 0
		.amdhsa_float_round_mode_32 0
		.amdhsa_float_round_mode_16_64 0
		.amdhsa_float_denorm_mode_32 3
		.amdhsa_float_denorm_mode_16_64 3
		.amdhsa_dx10_clamp 1
		.amdhsa_ieee_mode 1
		.amdhsa_fp16_overflow 0
		.amdhsa_exception_fp_ieee_invalid_op 0
		.amdhsa_exception_fp_denorm_src 0
		.amdhsa_exception_fp_ieee_div_zero 0
		.amdhsa_exception_fp_ieee_overflow 0
		.amdhsa_exception_fp_ieee_underflow 0
		.amdhsa_exception_fp_ieee_inexact 0
		.amdhsa_exception_int_div_zero 0
	.end_amdhsa_kernel
	.section	.text._ZN7rocprim17ROCPRIM_400000_NS6detail17trampoline_kernelINS0_14default_configENS1_22reduce_config_selectorIfEEZNS1_11reduce_implILb1ES3_N6thrust23THRUST_200600_302600_NS11hip_rocprim26transform_input_iterator_tIfNS8_17counting_iteratorIiNS8_11use_defaultESC_SC_EE11estimate_piEEPffNS8_4plusIfEEEE10hipError_tPvRmT1_T2_T3_mT4_P12ihipStream_tbEUlT_E1_NS1_11comp_targetILNS1_3genE3ELNS1_11target_archE908ELNS1_3gpuE7ELNS1_3repE0EEENS1_30default_config_static_selectorELNS0_4arch9wavefront6targetE1EEEvSM_,"axG",@progbits,_ZN7rocprim17ROCPRIM_400000_NS6detail17trampoline_kernelINS0_14default_configENS1_22reduce_config_selectorIfEEZNS1_11reduce_implILb1ES3_N6thrust23THRUST_200600_302600_NS11hip_rocprim26transform_input_iterator_tIfNS8_17counting_iteratorIiNS8_11use_defaultESC_SC_EE11estimate_piEEPffNS8_4plusIfEEEE10hipError_tPvRmT1_T2_T3_mT4_P12ihipStream_tbEUlT_E1_NS1_11comp_targetILNS1_3genE3ELNS1_11target_archE908ELNS1_3gpuE7ELNS1_3repE0EEENS1_30default_config_static_selectorELNS0_4arch9wavefront6targetE1EEEvSM_,comdat
.Lfunc_end30:
	.size	_ZN7rocprim17ROCPRIM_400000_NS6detail17trampoline_kernelINS0_14default_configENS1_22reduce_config_selectorIfEEZNS1_11reduce_implILb1ES3_N6thrust23THRUST_200600_302600_NS11hip_rocprim26transform_input_iterator_tIfNS8_17counting_iteratorIiNS8_11use_defaultESC_SC_EE11estimate_piEEPffNS8_4plusIfEEEE10hipError_tPvRmT1_T2_T3_mT4_P12ihipStream_tbEUlT_E1_NS1_11comp_targetILNS1_3genE3ELNS1_11target_archE908ELNS1_3gpuE7ELNS1_3repE0EEENS1_30default_config_static_selectorELNS0_4arch9wavefront6targetE1EEEvSM_, .Lfunc_end30-_ZN7rocprim17ROCPRIM_400000_NS6detail17trampoline_kernelINS0_14default_configENS1_22reduce_config_selectorIfEEZNS1_11reduce_implILb1ES3_N6thrust23THRUST_200600_302600_NS11hip_rocprim26transform_input_iterator_tIfNS8_17counting_iteratorIiNS8_11use_defaultESC_SC_EE11estimate_piEEPffNS8_4plusIfEEEE10hipError_tPvRmT1_T2_T3_mT4_P12ihipStream_tbEUlT_E1_NS1_11comp_targetILNS1_3genE3ELNS1_11target_archE908ELNS1_3gpuE7ELNS1_3repE0EEENS1_30default_config_static_selectorELNS0_4arch9wavefront6targetE1EEEvSM_
                                        ; -- End function
	.set _ZN7rocprim17ROCPRIM_400000_NS6detail17trampoline_kernelINS0_14default_configENS1_22reduce_config_selectorIfEEZNS1_11reduce_implILb1ES3_N6thrust23THRUST_200600_302600_NS11hip_rocprim26transform_input_iterator_tIfNS8_17counting_iteratorIiNS8_11use_defaultESC_SC_EE11estimate_piEEPffNS8_4plusIfEEEE10hipError_tPvRmT1_T2_T3_mT4_P12ihipStream_tbEUlT_E1_NS1_11comp_targetILNS1_3genE3ELNS1_11target_archE908ELNS1_3gpuE7ELNS1_3repE0EEENS1_30default_config_static_selectorELNS0_4arch9wavefront6targetE1EEEvSM_.num_vgpr, 0
	.set _ZN7rocprim17ROCPRIM_400000_NS6detail17trampoline_kernelINS0_14default_configENS1_22reduce_config_selectorIfEEZNS1_11reduce_implILb1ES3_N6thrust23THRUST_200600_302600_NS11hip_rocprim26transform_input_iterator_tIfNS8_17counting_iteratorIiNS8_11use_defaultESC_SC_EE11estimate_piEEPffNS8_4plusIfEEEE10hipError_tPvRmT1_T2_T3_mT4_P12ihipStream_tbEUlT_E1_NS1_11comp_targetILNS1_3genE3ELNS1_11target_archE908ELNS1_3gpuE7ELNS1_3repE0EEENS1_30default_config_static_selectorELNS0_4arch9wavefront6targetE1EEEvSM_.num_agpr, 0
	.set _ZN7rocprim17ROCPRIM_400000_NS6detail17trampoline_kernelINS0_14default_configENS1_22reduce_config_selectorIfEEZNS1_11reduce_implILb1ES3_N6thrust23THRUST_200600_302600_NS11hip_rocprim26transform_input_iterator_tIfNS8_17counting_iteratorIiNS8_11use_defaultESC_SC_EE11estimate_piEEPffNS8_4plusIfEEEE10hipError_tPvRmT1_T2_T3_mT4_P12ihipStream_tbEUlT_E1_NS1_11comp_targetILNS1_3genE3ELNS1_11target_archE908ELNS1_3gpuE7ELNS1_3repE0EEENS1_30default_config_static_selectorELNS0_4arch9wavefront6targetE1EEEvSM_.numbered_sgpr, 0
	.set _ZN7rocprim17ROCPRIM_400000_NS6detail17trampoline_kernelINS0_14default_configENS1_22reduce_config_selectorIfEEZNS1_11reduce_implILb1ES3_N6thrust23THRUST_200600_302600_NS11hip_rocprim26transform_input_iterator_tIfNS8_17counting_iteratorIiNS8_11use_defaultESC_SC_EE11estimate_piEEPffNS8_4plusIfEEEE10hipError_tPvRmT1_T2_T3_mT4_P12ihipStream_tbEUlT_E1_NS1_11comp_targetILNS1_3genE3ELNS1_11target_archE908ELNS1_3gpuE7ELNS1_3repE0EEENS1_30default_config_static_selectorELNS0_4arch9wavefront6targetE1EEEvSM_.num_named_barrier, 0
	.set _ZN7rocprim17ROCPRIM_400000_NS6detail17trampoline_kernelINS0_14default_configENS1_22reduce_config_selectorIfEEZNS1_11reduce_implILb1ES3_N6thrust23THRUST_200600_302600_NS11hip_rocprim26transform_input_iterator_tIfNS8_17counting_iteratorIiNS8_11use_defaultESC_SC_EE11estimate_piEEPffNS8_4plusIfEEEE10hipError_tPvRmT1_T2_T3_mT4_P12ihipStream_tbEUlT_E1_NS1_11comp_targetILNS1_3genE3ELNS1_11target_archE908ELNS1_3gpuE7ELNS1_3repE0EEENS1_30default_config_static_selectorELNS0_4arch9wavefront6targetE1EEEvSM_.private_seg_size, 0
	.set _ZN7rocprim17ROCPRIM_400000_NS6detail17trampoline_kernelINS0_14default_configENS1_22reduce_config_selectorIfEEZNS1_11reduce_implILb1ES3_N6thrust23THRUST_200600_302600_NS11hip_rocprim26transform_input_iterator_tIfNS8_17counting_iteratorIiNS8_11use_defaultESC_SC_EE11estimate_piEEPffNS8_4plusIfEEEE10hipError_tPvRmT1_T2_T3_mT4_P12ihipStream_tbEUlT_E1_NS1_11comp_targetILNS1_3genE3ELNS1_11target_archE908ELNS1_3gpuE7ELNS1_3repE0EEENS1_30default_config_static_selectorELNS0_4arch9wavefront6targetE1EEEvSM_.uses_vcc, 0
	.set _ZN7rocprim17ROCPRIM_400000_NS6detail17trampoline_kernelINS0_14default_configENS1_22reduce_config_selectorIfEEZNS1_11reduce_implILb1ES3_N6thrust23THRUST_200600_302600_NS11hip_rocprim26transform_input_iterator_tIfNS8_17counting_iteratorIiNS8_11use_defaultESC_SC_EE11estimate_piEEPffNS8_4plusIfEEEE10hipError_tPvRmT1_T2_T3_mT4_P12ihipStream_tbEUlT_E1_NS1_11comp_targetILNS1_3genE3ELNS1_11target_archE908ELNS1_3gpuE7ELNS1_3repE0EEENS1_30default_config_static_selectorELNS0_4arch9wavefront6targetE1EEEvSM_.uses_flat_scratch, 0
	.set _ZN7rocprim17ROCPRIM_400000_NS6detail17trampoline_kernelINS0_14default_configENS1_22reduce_config_selectorIfEEZNS1_11reduce_implILb1ES3_N6thrust23THRUST_200600_302600_NS11hip_rocprim26transform_input_iterator_tIfNS8_17counting_iteratorIiNS8_11use_defaultESC_SC_EE11estimate_piEEPffNS8_4plusIfEEEE10hipError_tPvRmT1_T2_T3_mT4_P12ihipStream_tbEUlT_E1_NS1_11comp_targetILNS1_3genE3ELNS1_11target_archE908ELNS1_3gpuE7ELNS1_3repE0EEENS1_30default_config_static_selectorELNS0_4arch9wavefront6targetE1EEEvSM_.has_dyn_sized_stack, 0
	.set _ZN7rocprim17ROCPRIM_400000_NS6detail17trampoline_kernelINS0_14default_configENS1_22reduce_config_selectorIfEEZNS1_11reduce_implILb1ES3_N6thrust23THRUST_200600_302600_NS11hip_rocprim26transform_input_iterator_tIfNS8_17counting_iteratorIiNS8_11use_defaultESC_SC_EE11estimate_piEEPffNS8_4plusIfEEEE10hipError_tPvRmT1_T2_T3_mT4_P12ihipStream_tbEUlT_E1_NS1_11comp_targetILNS1_3genE3ELNS1_11target_archE908ELNS1_3gpuE7ELNS1_3repE0EEENS1_30default_config_static_selectorELNS0_4arch9wavefront6targetE1EEEvSM_.has_recursion, 0
	.set _ZN7rocprim17ROCPRIM_400000_NS6detail17trampoline_kernelINS0_14default_configENS1_22reduce_config_selectorIfEEZNS1_11reduce_implILb1ES3_N6thrust23THRUST_200600_302600_NS11hip_rocprim26transform_input_iterator_tIfNS8_17counting_iteratorIiNS8_11use_defaultESC_SC_EE11estimate_piEEPffNS8_4plusIfEEEE10hipError_tPvRmT1_T2_T3_mT4_P12ihipStream_tbEUlT_E1_NS1_11comp_targetILNS1_3genE3ELNS1_11target_archE908ELNS1_3gpuE7ELNS1_3repE0EEENS1_30default_config_static_selectorELNS0_4arch9wavefront6targetE1EEEvSM_.has_indirect_call, 0
	.section	.AMDGPU.csdata,"",@progbits
; Kernel info:
; codeLenInByte = 0
; TotalNumSgprs: 4
; NumVgprs: 0
; ScratchSize: 0
; MemoryBound: 0
; FloatMode: 240
; IeeeMode: 1
; LDSByteSize: 0 bytes/workgroup (compile time only)
; SGPRBlocks: 0
; VGPRBlocks: 0
; NumSGPRsForWavesPerEU: 4
; NumVGPRsForWavesPerEU: 1
; Occupancy: 10
; WaveLimiterHint : 0
; COMPUTE_PGM_RSRC2:SCRATCH_EN: 0
; COMPUTE_PGM_RSRC2:USER_SGPR: 6
; COMPUTE_PGM_RSRC2:TRAP_HANDLER: 0
; COMPUTE_PGM_RSRC2:TGID_X_EN: 1
; COMPUTE_PGM_RSRC2:TGID_Y_EN: 0
; COMPUTE_PGM_RSRC2:TGID_Z_EN: 0
; COMPUTE_PGM_RSRC2:TIDIG_COMP_CNT: 0
	.section	.text._ZN7rocprim17ROCPRIM_400000_NS6detail17trampoline_kernelINS0_14default_configENS1_22reduce_config_selectorIfEEZNS1_11reduce_implILb1ES3_N6thrust23THRUST_200600_302600_NS11hip_rocprim26transform_input_iterator_tIfNS8_17counting_iteratorIiNS8_11use_defaultESC_SC_EE11estimate_piEEPffNS8_4plusIfEEEE10hipError_tPvRmT1_T2_T3_mT4_P12ihipStream_tbEUlT_E1_NS1_11comp_targetILNS1_3genE2ELNS1_11target_archE906ELNS1_3gpuE6ELNS1_3repE0EEENS1_30default_config_static_selectorELNS0_4arch9wavefront6targetE1EEEvSM_,"axG",@progbits,_ZN7rocprim17ROCPRIM_400000_NS6detail17trampoline_kernelINS0_14default_configENS1_22reduce_config_selectorIfEEZNS1_11reduce_implILb1ES3_N6thrust23THRUST_200600_302600_NS11hip_rocprim26transform_input_iterator_tIfNS8_17counting_iteratorIiNS8_11use_defaultESC_SC_EE11estimate_piEEPffNS8_4plusIfEEEE10hipError_tPvRmT1_T2_T3_mT4_P12ihipStream_tbEUlT_E1_NS1_11comp_targetILNS1_3genE2ELNS1_11target_archE906ELNS1_3gpuE6ELNS1_3repE0EEENS1_30default_config_static_selectorELNS0_4arch9wavefront6targetE1EEEvSM_,comdat
	.protected	_ZN7rocprim17ROCPRIM_400000_NS6detail17trampoline_kernelINS0_14default_configENS1_22reduce_config_selectorIfEEZNS1_11reduce_implILb1ES3_N6thrust23THRUST_200600_302600_NS11hip_rocprim26transform_input_iterator_tIfNS8_17counting_iteratorIiNS8_11use_defaultESC_SC_EE11estimate_piEEPffNS8_4plusIfEEEE10hipError_tPvRmT1_T2_T3_mT4_P12ihipStream_tbEUlT_E1_NS1_11comp_targetILNS1_3genE2ELNS1_11target_archE906ELNS1_3gpuE6ELNS1_3repE0EEENS1_30default_config_static_selectorELNS0_4arch9wavefront6targetE1EEEvSM_ ; -- Begin function _ZN7rocprim17ROCPRIM_400000_NS6detail17trampoline_kernelINS0_14default_configENS1_22reduce_config_selectorIfEEZNS1_11reduce_implILb1ES3_N6thrust23THRUST_200600_302600_NS11hip_rocprim26transform_input_iterator_tIfNS8_17counting_iteratorIiNS8_11use_defaultESC_SC_EE11estimate_piEEPffNS8_4plusIfEEEE10hipError_tPvRmT1_T2_T3_mT4_P12ihipStream_tbEUlT_E1_NS1_11comp_targetILNS1_3genE2ELNS1_11target_archE906ELNS1_3gpuE6ELNS1_3repE0EEENS1_30default_config_static_selectorELNS0_4arch9wavefront6targetE1EEEvSM_
	.globl	_ZN7rocprim17ROCPRIM_400000_NS6detail17trampoline_kernelINS0_14default_configENS1_22reduce_config_selectorIfEEZNS1_11reduce_implILb1ES3_N6thrust23THRUST_200600_302600_NS11hip_rocprim26transform_input_iterator_tIfNS8_17counting_iteratorIiNS8_11use_defaultESC_SC_EE11estimate_piEEPffNS8_4plusIfEEEE10hipError_tPvRmT1_T2_T3_mT4_P12ihipStream_tbEUlT_E1_NS1_11comp_targetILNS1_3genE2ELNS1_11target_archE906ELNS1_3gpuE6ELNS1_3repE0EEENS1_30default_config_static_selectorELNS0_4arch9wavefront6targetE1EEEvSM_
	.p2align	8
	.type	_ZN7rocprim17ROCPRIM_400000_NS6detail17trampoline_kernelINS0_14default_configENS1_22reduce_config_selectorIfEEZNS1_11reduce_implILb1ES3_N6thrust23THRUST_200600_302600_NS11hip_rocprim26transform_input_iterator_tIfNS8_17counting_iteratorIiNS8_11use_defaultESC_SC_EE11estimate_piEEPffNS8_4plusIfEEEE10hipError_tPvRmT1_T2_T3_mT4_P12ihipStream_tbEUlT_E1_NS1_11comp_targetILNS1_3genE2ELNS1_11target_archE906ELNS1_3gpuE6ELNS1_3repE0EEENS1_30default_config_static_selectorELNS0_4arch9wavefront6targetE1EEEvSM_,@function
_ZN7rocprim17ROCPRIM_400000_NS6detail17trampoline_kernelINS0_14default_configENS1_22reduce_config_selectorIfEEZNS1_11reduce_implILb1ES3_N6thrust23THRUST_200600_302600_NS11hip_rocprim26transform_input_iterator_tIfNS8_17counting_iteratorIiNS8_11use_defaultESC_SC_EE11estimate_piEEPffNS8_4plusIfEEEE10hipError_tPvRmT1_T2_T3_mT4_P12ihipStream_tbEUlT_E1_NS1_11comp_targetILNS1_3genE2ELNS1_11target_archE906ELNS1_3gpuE6ELNS1_3repE0EEENS1_30default_config_static_selectorELNS0_4arch9wavefront6targetE1EEEvSM_: ; @_ZN7rocprim17ROCPRIM_400000_NS6detail17trampoline_kernelINS0_14default_configENS1_22reduce_config_selectorIfEEZNS1_11reduce_implILb1ES3_N6thrust23THRUST_200600_302600_NS11hip_rocprim26transform_input_iterator_tIfNS8_17counting_iteratorIiNS8_11use_defaultESC_SC_EE11estimate_piEEPffNS8_4plusIfEEEE10hipError_tPvRmT1_T2_T3_mT4_P12ihipStream_tbEUlT_E1_NS1_11comp_targetILNS1_3genE2ELNS1_11target_archE906ELNS1_3gpuE6ELNS1_3repE0EEENS1_30default_config_static_selectorELNS0_4arch9wavefront6targetE1EEEvSM_
; %bb.0:
	s_load_dwordx2 s[70:71], s[4:5], 0x4
	s_load_dwordx4 s[72:75], s[4:5], 0x10
	s_waitcnt lgkmcnt(0)
	s_cmp_lt_i32 s70, 8
	s_cbranch_scc1 .LBB31_75
; %bb.1:
	s_cmp_gt_i32 s70, 15
	s_cbranch_scc0 .LBB31_76
; %bb.2:
	s_cmp_gt_i32 s70, 31
	s_cbranch_scc0 .LBB31_77
; %bb.3:
	s_cmp_eq_u32 s70, 32
	s_mov_b64 s[76:77], 0
	s_cbranch_scc0 .LBB31_78
; %bb.4:
	s_lshl_b32 s2, s6, 13
	s_mov_b32 s7, 0
	s_lshr_b64 s[0:1], s[72:73], 13
	s_add_i32 s33, s71, s2
	s_cmp_lg_u64 s[0:1], s[6:7]
	s_cbranch_scc0 .LBB31_119
; %bb.5:
	v_add_u32_e32 v2, s33, v0
	v_lshlrev_b32_e32 v1, 12, v2
	s_mov_b32 s0, 0x7ed55d16
	v_add3_u32 v1, v2, v1, s0
	v_lshrrev_b32_e32 v3, 19, v1
	v_xor_b32_e32 v1, v1, v3
	v_xor_b32_e32 v1, 0xc761c23c, v1
	v_lshl_add_u32 v1, v1, 5, v1
	v_mov_b32_e32 v4, 0xaccf6200
	v_add_u32_e32 v3, 0xe9f8cc1d, v1
	v_lshl_add_u32 v1, v1, 9, v4
	v_xor_b32_e32 v1, v3, v1
	v_lshlrev_b32_e32 v3, 3, v1
	s_mov_b32 s0, 0xfd7046c5
	v_add3_u32 v1, v1, v3, s0
	v_xor_b32_sdwa v1, v1, v1 dst_sel:DWORD dst_unused:UNUSED_PAD src0_sel:DWORD src1_sel:WORD_1
	v_xor_b32_e32 v3, 0xb55a4f09, v1
	v_mul_hi_u32 v1, v3, 3
	s_brev_b32 s0, -2
	s_movk_i32 s3, 0x2710
	s_mov_b32 s8, 0xbc8f1391
	v_sub_u32_e32 v4, v3, v1
	v_lshrrev_b32_e32 v4, 1, v4
	v_add_u32_e32 v1, v4, v1
	v_lshrrev_b32_e32 v1, 30, v1
	v_mul_lo_u32 v4, v1, s0
	v_mov_b32_e32 v1, 0
	s_mov_b32 s9, 0xbc8f
	s_brev_b32 s10, 12
	v_sub_u32_e32 v3, v3, v4
	v_max_u32_e32 v4, 1, v3
	s_mov_b32 s11, 0xf800000
	v_mov_b32_e32 v3, 0x260
.LBB31_6:                               ; =>This Inner Loop Header: Depth=1
	v_mul_hi_u32 v5, v4, s8
	v_add_f32_e32 v6, 1.0, v1
	s_add_i32 s3, s3, -2
	s_cmp_lg_u32 s3, 0
	v_lshrrev_b32_e32 v5, 15, v5
	v_mul_u32_u24_e32 v7, 0xadc8, v5
	v_sub_u32_e32 v4, v4, v7
	v_mul_lo_u32 v4, v4, s9
	v_mul_u32_u24_e32 v5, 0xd47, v5
	v_xor_b32_e32 v7, 0x7fffffff, v5
	v_sub_u32_e32 v8, 0, v5
	v_cmp_lt_u32_e32 vcc, v4, v5
	v_cndmask_b32_e32 v5, v8, v7, vcc
	v_add_u32_e32 v4, v5, v4
	v_mul_hi_u32 v7, v4, s8
	v_add_u32_e32 v5, -1, v4
	v_cvt_f32_u32_e32 v5, v5
	v_lshrrev_b32_e32 v7, 15, v7
	v_mul_u32_u24_e32 v8, 0xadc8, v7
	v_sub_u32_e32 v4, v4, v8
	v_mul_lo_u32 v4, v4, s9
	v_mul_u32_u24_e32 v7, 0xd47, v7
	v_xor_b32_e32 v8, 0x7fffffff, v7
	v_sub_u32_e32 v9, 0, v7
	v_cmp_lt_u32_e32 vcc, v4, v7
	v_cndmask_b32_e32 v7, v9, v8, vcc
	v_add_u32_e32 v4, v7, v4
	v_mul_hi_u32 v8, v4, s8
	v_add_u32_e32 v7, -1, v4
	v_cvt_f32_u32_e32 v7, v7
	v_fma_f32 v5, v5, s10, 0
	v_lshrrev_b32_e32 v8, 15, v8
	v_mul_u32_u24_e32 v9, 0xadc8, v8
	v_fma_f32 v7, v7, s10, 0
	v_sub_u32_e32 v4, v4, v9
	v_mul_f32_e32 v7, v7, v7
	v_mul_lo_u32 v4, v4, s9
	v_fmac_f32_e32 v7, v5, v5
	v_mul_f32_e32 v5, 0x4f800000, v7
	v_cmp_gt_f32_e32 vcc, s11, v7
	v_mul_u32_u24_e32 v8, 0xd47, v8
	v_cndmask_b32_e32 v5, v7, v5, vcc
	v_xor_b32_e32 v9, 0x7fffffff, v8
	v_sub_u32_e32 v10, 0, v8
	v_sqrt_f32_e32 v7, v5
	v_cmp_lt_u32_e64 s[0:1], v4, v8
	v_cndmask_b32_e64 v8, v10, v9, s[0:1]
	v_add_u32_e32 v4, v8, v4
	v_mul_hi_u32 v9, v4, s8
	v_add_u32_e32 v10, -1, v7
	v_add_u32_e32 v11, 1, v7
	v_fma_f32 v12, -v10, v7, v5
	v_fma_f32 v13, -v11, v7, v5
	v_cmp_ge_f32_e64 s[0:1], 0, v12
	v_cndmask_b32_e64 v7, v7, v10, s[0:1]
	v_cmp_lt_f32_e64 s[0:1], 0, v13
	v_lshrrev_b32_e32 v9, 15, v9
	v_cndmask_b32_e64 v7, v7, v11, s[0:1]
	v_mul_u32_u24_e32 v11, 0xadc8, v9
	v_add_u32_e32 v8, -1, v4
	v_sub_u32_e32 v4, v4, v11
	v_mul_f32_e32 v10, 0x37800000, v7
	v_mul_lo_u32 v4, v4, s9
	v_cndmask_b32_e32 v7, v7, v10, vcc
	v_cmp_class_f32_e32 vcc, v5, v3
	v_cndmask_b32_e32 v5, v7, v5, vcc
	v_mul_u32_u24_e32 v9, 0xd47, v9
	v_cmp_nge_f32_e32 vcc, 1.0, v5
	v_xor_b32_e32 v10, 0x7fffffff, v9
	v_sub_u32_e32 v11, 0, v9
	v_cndmask_b32_e32 v1, v6, v1, vcc
	v_cmp_lt_u32_e32 vcc, v4, v9
	v_cndmask_b32_e32 v6, v11, v10, vcc
	v_add_u32_e32 v4, v6, v4
	v_add_u32_e32 v6, -1, v4
	v_cvt_f32_u32_e32 v6, v6
	v_cvt_f32_u32_e32 v8, v8
	v_add_f32_e32 v5, 1.0, v1
	v_fma_f32 v6, v6, s10, 0
	v_fma_f32 v8, v8, s10, 0
	v_mul_f32_e32 v6, v6, v6
	v_fmac_f32_e32 v6, v8, v8
	v_mul_f32_e32 v7, 0x4f800000, v6
	v_cmp_gt_f32_e32 vcc, s11, v6
	v_cndmask_b32_e32 v6, v6, v7, vcc
	v_sqrt_f32_e32 v7, v6
	v_add_u32_e32 v8, -1, v7
	v_add_u32_e32 v9, 1, v7
	v_fma_f32 v10, -v8, v7, v6
	v_fma_f32 v11, -v9, v7, v6
	v_cmp_ge_f32_e64 s[0:1], 0, v10
	v_cndmask_b32_e64 v7, v7, v8, s[0:1]
	v_cmp_lt_f32_e64 s[0:1], 0, v11
	v_cndmask_b32_e64 v7, v7, v9, s[0:1]
	v_mul_f32_e32 v8, 0x37800000, v7
	v_cndmask_b32_e32 v7, v7, v8, vcc
	v_cmp_class_f32_e32 vcc, v6, v3
	v_cndmask_b32_e32 v6, v7, v6, vcc
	v_cmp_nge_f32_e32 vcc, 1.0, v6
	v_cndmask_b32_e32 v1, v5, v1, vcc
	s_cbranch_scc1 .LBB31_6
; %bb.7:
	v_lshl_add_u32 v5, v2, 12, v2
	v_add_u32_e32 v2, 0x7ee55e16, v5
	v_lshrrev_b32_e32 v3, 19, v2
	v_xor_b32_e32 v2, v2, v3
	v_xor_b32_e32 v2, 0xc761c23c, v2
	v_lshl_add_u32 v2, v2, 5, v2
	v_mov_b32_e32 v4, 0xaccf6200
	v_add_u32_e32 v3, 0xe9f8cc1d, v2
	v_lshl_add_u32 v2, v2, 9, v4
	v_xor_b32_e32 v2, v3, v2
	v_lshlrev_b32_e32 v3, 3, v2
	s_mov_b32 s0, 0xfd7046c5
	v_add3_u32 v2, v2, v3, s0
	v_xor_b32_sdwa v2, v2, v2 dst_sel:DWORD dst_unused:UNUSED_PAD src0_sel:DWORD src1_sel:WORD_1
	v_xor_b32_e32 v3, 0xb55a4f09, v2
	v_mul_hi_u32 v2, v3, 3
	s_brev_b32 s0, -2
	s_movk_i32 s3, 0x2710
	s_mov_b32 s8, 0xbc8f1391
	v_sub_u32_e32 v4, v3, v2
	v_lshrrev_b32_e32 v4, 1, v4
	v_add_u32_e32 v2, v4, v2
	v_lshrrev_b32_e32 v2, 30, v2
	v_mul_lo_u32 v4, v2, s0
	v_mov_b32_e32 v2, 0
	s_mov_b32 s9, 0xbc8f
	s_brev_b32 s10, 12
	v_sub_u32_e32 v3, v3, v4
	v_max_u32_e32 v4, 1, v3
	s_mov_b32 s11, 0xf800000
	v_mov_b32_e32 v3, 0x260
.LBB31_8:                               ; =>This Inner Loop Header: Depth=1
	v_mul_hi_u32 v6, v4, s8
	v_add_f32_e32 v7, 1.0, v2
	s_add_i32 s3, s3, -2
	s_cmp_lg_u32 s3, 0
	v_lshrrev_b32_e32 v6, 15, v6
	v_mul_u32_u24_e32 v8, 0xadc8, v6
	v_sub_u32_e32 v4, v4, v8
	v_mul_lo_u32 v4, v4, s9
	v_mul_u32_u24_e32 v6, 0xd47, v6
	v_xor_b32_e32 v8, 0x7fffffff, v6
	v_sub_u32_e32 v9, 0, v6
	v_cmp_lt_u32_e32 vcc, v4, v6
	v_cndmask_b32_e32 v6, v9, v8, vcc
	v_add_u32_e32 v4, v6, v4
	v_mul_hi_u32 v8, v4, s8
	v_add_u32_e32 v6, -1, v4
	v_cvt_f32_u32_e32 v6, v6
	v_lshrrev_b32_e32 v8, 15, v8
	v_mul_u32_u24_e32 v9, 0xadc8, v8
	v_sub_u32_e32 v4, v4, v9
	v_mul_lo_u32 v4, v4, s9
	v_mul_u32_u24_e32 v8, 0xd47, v8
	v_xor_b32_e32 v9, 0x7fffffff, v8
	v_sub_u32_e32 v10, 0, v8
	v_cmp_lt_u32_e32 vcc, v4, v8
	v_cndmask_b32_e32 v8, v10, v9, vcc
	v_add_u32_e32 v4, v8, v4
	v_mul_hi_u32 v9, v4, s8
	v_add_u32_e32 v8, -1, v4
	v_cvt_f32_u32_e32 v8, v8
	v_fma_f32 v6, v6, s10, 0
	v_lshrrev_b32_e32 v9, 15, v9
	v_mul_u32_u24_e32 v10, 0xadc8, v9
	v_fma_f32 v8, v8, s10, 0
	v_sub_u32_e32 v4, v4, v10
	v_mul_f32_e32 v8, v8, v8
	v_mul_lo_u32 v4, v4, s9
	v_fmac_f32_e32 v8, v6, v6
	v_mul_f32_e32 v6, 0x4f800000, v8
	v_cmp_gt_f32_e32 vcc, s11, v8
	v_mul_u32_u24_e32 v9, 0xd47, v9
	v_cndmask_b32_e32 v6, v8, v6, vcc
	v_xor_b32_e32 v10, 0x7fffffff, v9
	v_sub_u32_e32 v11, 0, v9
	v_sqrt_f32_e32 v8, v6
	v_cmp_lt_u32_e64 s[0:1], v4, v9
	v_cndmask_b32_e64 v9, v11, v10, s[0:1]
	v_add_u32_e32 v4, v9, v4
	v_mul_hi_u32 v10, v4, s8
	v_add_u32_e32 v11, -1, v8
	v_add_u32_e32 v12, 1, v8
	v_fma_f32 v13, -v11, v8, v6
	v_fma_f32 v14, -v12, v8, v6
	v_cmp_ge_f32_e64 s[0:1], 0, v13
	v_cndmask_b32_e64 v8, v8, v11, s[0:1]
	v_cmp_lt_f32_e64 s[0:1], 0, v14
	v_lshrrev_b32_e32 v10, 15, v10
	v_cndmask_b32_e64 v8, v8, v12, s[0:1]
	v_mul_u32_u24_e32 v12, 0xadc8, v10
	v_add_u32_e32 v9, -1, v4
	v_sub_u32_e32 v4, v4, v12
	v_mul_f32_e32 v11, 0x37800000, v8
	v_mul_lo_u32 v4, v4, s9
	v_cndmask_b32_e32 v8, v8, v11, vcc
	v_cmp_class_f32_e32 vcc, v6, v3
	v_cndmask_b32_e32 v6, v8, v6, vcc
	v_mul_u32_u24_e32 v10, 0xd47, v10
	v_cmp_nge_f32_e32 vcc, 1.0, v6
	v_xor_b32_e32 v11, 0x7fffffff, v10
	v_sub_u32_e32 v12, 0, v10
	v_cndmask_b32_e32 v2, v7, v2, vcc
	v_cmp_lt_u32_e32 vcc, v4, v10
	v_cndmask_b32_e32 v7, v12, v11, vcc
	v_add_u32_e32 v4, v7, v4
	v_add_u32_e32 v7, -1, v4
	v_cvt_f32_u32_e32 v7, v7
	v_cvt_f32_u32_e32 v9, v9
	v_add_f32_e32 v6, 1.0, v2
	v_fma_f32 v7, v7, s10, 0
	v_fma_f32 v9, v9, s10, 0
	v_mul_f32_e32 v7, v7, v7
	v_fmac_f32_e32 v7, v9, v9
	v_mul_f32_e32 v8, 0x4f800000, v7
	v_cmp_gt_f32_e32 vcc, s11, v7
	v_cndmask_b32_e32 v7, v7, v8, vcc
	v_sqrt_f32_e32 v8, v7
	v_add_u32_e32 v9, -1, v8
	v_add_u32_e32 v10, 1, v8
	v_fma_f32 v11, -v9, v8, v7
	v_fma_f32 v12, -v10, v8, v7
	v_cmp_ge_f32_e64 s[0:1], 0, v11
	v_cndmask_b32_e64 v8, v8, v9, s[0:1]
	v_cmp_lt_f32_e64 s[0:1], 0, v12
	v_cndmask_b32_e64 v8, v8, v10, s[0:1]
	v_mul_f32_e32 v9, 0x37800000, v8
	v_cndmask_b32_e32 v8, v8, v9, vcc
	v_cmp_class_f32_e32 vcc, v7, v3
	v_cndmask_b32_e32 v7, v8, v7, vcc
	v_cmp_nge_f32_e32 vcc, 1.0, v7
	v_cndmask_b32_e32 v2, v6, v2, vcc
	s_cbranch_scc1 .LBB31_8
; %bb.9:
	v_add_u32_e32 v3, 0x7ef55f16, v5
	v_lshrrev_b32_e32 v4, 19, v3
	v_xor_b32_e32 v3, v3, v4
	v_xor_b32_e32 v3, 0xc761c23c, v3
	v_lshl_add_u32 v3, v3, 5, v3
	v_mov_b32_e32 v6, 0xaccf6200
	v_add_u32_e32 v4, 0xe9f8cc1d, v3
	v_lshl_add_u32 v3, v3, 9, v6
	v_xor_b32_e32 v3, v4, v3
	v_lshlrev_b32_e32 v4, 3, v3
	s_mov_b32 s0, 0xfd7046c5
	v_add3_u32 v3, v3, v4, s0
	v_xor_b32_sdwa v3, v3, v3 dst_sel:DWORD dst_unused:UNUSED_PAD src0_sel:DWORD src1_sel:WORD_1
	v_xor_b32_e32 v4, 0xb55a4f09, v3
	v_mul_hi_u32 v3, v4, 3
	s_brev_b32 s0, -2
	s_movk_i32 s3, 0x2710
	s_mov_b32 s8, 0xbc8f1391
	v_sub_u32_e32 v6, v4, v3
	v_lshrrev_b32_e32 v6, 1, v6
	v_add_u32_e32 v3, v6, v3
	v_lshrrev_b32_e32 v3, 30, v3
	v_mul_lo_u32 v6, v3, s0
	v_mov_b32_e32 v3, 0
	s_mov_b32 s9, 0xbc8f
	s_brev_b32 s10, 12
	v_sub_u32_e32 v4, v4, v6
	v_max_u32_e32 v6, 1, v4
	s_mov_b32 s11, 0xf800000
	v_mov_b32_e32 v4, 0x260
.LBB31_10:                              ; =>This Inner Loop Header: Depth=1
	v_mul_hi_u32 v7, v6, s8
	v_add_f32_e32 v8, 1.0, v3
	s_add_i32 s3, s3, -2
	s_cmp_lg_u32 s3, 0
	v_lshrrev_b32_e32 v7, 15, v7
	v_mul_u32_u24_e32 v9, 0xadc8, v7
	v_sub_u32_e32 v6, v6, v9
	v_mul_lo_u32 v6, v6, s9
	v_mul_u32_u24_e32 v7, 0xd47, v7
	v_xor_b32_e32 v9, 0x7fffffff, v7
	v_sub_u32_e32 v10, 0, v7
	v_cmp_lt_u32_e32 vcc, v6, v7
	v_cndmask_b32_e32 v7, v10, v9, vcc
	v_add_u32_e32 v6, v7, v6
	v_mul_hi_u32 v9, v6, s8
	v_add_u32_e32 v7, -1, v6
	v_cvt_f32_u32_e32 v7, v7
	v_lshrrev_b32_e32 v9, 15, v9
	v_mul_u32_u24_e32 v10, 0xadc8, v9
	v_sub_u32_e32 v6, v6, v10
	v_mul_lo_u32 v6, v6, s9
	v_mul_u32_u24_e32 v9, 0xd47, v9
	v_xor_b32_e32 v10, 0x7fffffff, v9
	v_sub_u32_e32 v11, 0, v9
	v_cmp_lt_u32_e32 vcc, v6, v9
	v_cndmask_b32_e32 v9, v11, v10, vcc
	v_add_u32_e32 v6, v9, v6
	v_mul_hi_u32 v10, v6, s8
	v_add_u32_e32 v9, -1, v6
	v_cvt_f32_u32_e32 v9, v9
	v_fma_f32 v7, v7, s10, 0
	v_lshrrev_b32_e32 v10, 15, v10
	v_mul_u32_u24_e32 v11, 0xadc8, v10
	v_fma_f32 v9, v9, s10, 0
	v_sub_u32_e32 v6, v6, v11
	v_mul_f32_e32 v9, v9, v9
	v_mul_lo_u32 v6, v6, s9
	v_fmac_f32_e32 v9, v7, v7
	v_mul_f32_e32 v7, 0x4f800000, v9
	v_cmp_gt_f32_e32 vcc, s11, v9
	v_mul_u32_u24_e32 v10, 0xd47, v10
	v_cndmask_b32_e32 v7, v9, v7, vcc
	v_xor_b32_e32 v11, 0x7fffffff, v10
	v_sub_u32_e32 v12, 0, v10
	v_sqrt_f32_e32 v9, v7
	v_cmp_lt_u32_e64 s[0:1], v6, v10
	v_cndmask_b32_e64 v10, v12, v11, s[0:1]
	v_add_u32_e32 v6, v10, v6
	v_mul_hi_u32 v11, v6, s8
	v_add_u32_e32 v12, -1, v9
	v_add_u32_e32 v13, 1, v9
	v_fma_f32 v14, -v12, v9, v7
	v_fma_f32 v15, -v13, v9, v7
	v_cmp_ge_f32_e64 s[0:1], 0, v14
	v_cndmask_b32_e64 v9, v9, v12, s[0:1]
	v_cmp_lt_f32_e64 s[0:1], 0, v15
	v_lshrrev_b32_e32 v11, 15, v11
	v_cndmask_b32_e64 v9, v9, v13, s[0:1]
	v_mul_u32_u24_e32 v13, 0xadc8, v11
	v_add_u32_e32 v10, -1, v6
	v_sub_u32_e32 v6, v6, v13
	v_mul_f32_e32 v12, 0x37800000, v9
	v_mul_lo_u32 v6, v6, s9
	v_cndmask_b32_e32 v9, v9, v12, vcc
	v_cmp_class_f32_e32 vcc, v7, v4
	v_cndmask_b32_e32 v7, v9, v7, vcc
	v_mul_u32_u24_e32 v11, 0xd47, v11
	v_cmp_nge_f32_e32 vcc, 1.0, v7
	v_xor_b32_e32 v12, 0x7fffffff, v11
	v_sub_u32_e32 v13, 0, v11
	v_cndmask_b32_e32 v3, v8, v3, vcc
	v_cmp_lt_u32_e32 vcc, v6, v11
	v_cndmask_b32_e32 v8, v13, v12, vcc
	v_add_u32_e32 v6, v8, v6
	v_add_u32_e32 v8, -1, v6
	v_cvt_f32_u32_e32 v8, v8
	v_cvt_f32_u32_e32 v10, v10
	v_add_f32_e32 v7, 1.0, v3
	v_fma_f32 v8, v8, s10, 0
	v_fma_f32 v10, v10, s10, 0
	v_mul_f32_e32 v8, v8, v8
	v_fmac_f32_e32 v8, v10, v10
	v_mul_f32_e32 v9, 0x4f800000, v8
	v_cmp_gt_f32_e32 vcc, s11, v8
	v_cndmask_b32_e32 v8, v8, v9, vcc
	v_sqrt_f32_e32 v9, v8
	v_add_u32_e32 v10, -1, v9
	v_add_u32_e32 v11, 1, v9
	v_fma_f32 v12, -v10, v9, v8
	v_fma_f32 v13, -v11, v9, v8
	v_cmp_ge_f32_e64 s[0:1], 0, v12
	v_cndmask_b32_e64 v9, v9, v10, s[0:1]
	v_cmp_lt_f32_e64 s[0:1], 0, v13
	v_cndmask_b32_e64 v9, v9, v11, s[0:1]
	v_mul_f32_e32 v10, 0x37800000, v9
	v_cndmask_b32_e32 v9, v9, v10, vcc
	v_cmp_class_f32_e32 vcc, v8, v4
	v_cndmask_b32_e32 v8, v9, v8, vcc
	v_cmp_nge_f32_e32 vcc, 1.0, v8
	v_cndmask_b32_e32 v3, v7, v3, vcc
	s_cbranch_scc1 .LBB31_10
; %bb.11:
	v_add_u32_e32 v4, 0x7f056016, v5
	v_lshrrev_b32_e32 v6, 19, v4
	v_xor_b32_e32 v4, v4, v6
	v_xor_b32_e32 v4, 0xc761c23c, v4
	v_lshl_add_u32 v4, v4, 5, v4
	v_mov_b32_e32 v7, 0xaccf6200
	v_add_u32_e32 v6, 0xe9f8cc1d, v4
	v_lshl_add_u32 v4, v4, 9, v7
	v_xor_b32_e32 v4, v6, v4
	v_lshlrev_b32_e32 v6, 3, v4
	s_mov_b32 s0, 0xfd7046c5
	v_add3_u32 v4, v4, v6, s0
	v_xor_b32_sdwa v4, v4, v4 dst_sel:DWORD dst_unused:UNUSED_PAD src0_sel:DWORD src1_sel:WORD_1
	v_xor_b32_e32 v6, 0xb55a4f09, v4
	v_mul_hi_u32 v4, v6, 3
	s_brev_b32 s0, -2
	s_movk_i32 s3, 0x2710
	s_mov_b32 s8, 0xbc8f1391
	v_sub_u32_e32 v7, v6, v4
	v_lshrrev_b32_e32 v7, 1, v7
	v_add_u32_e32 v4, v7, v4
	v_lshrrev_b32_e32 v4, 30, v4
	v_mul_lo_u32 v7, v4, s0
	v_mov_b32_e32 v4, 0
	s_mov_b32 s9, 0xbc8f
	s_brev_b32 s10, 12
	v_sub_u32_e32 v6, v6, v7
	v_max_u32_e32 v7, 1, v6
	s_mov_b32 s11, 0xf800000
	v_mov_b32_e32 v6, 0x260
.LBB31_12:                              ; =>This Inner Loop Header: Depth=1
	v_mul_hi_u32 v8, v7, s8
	v_add_f32_e32 v9, 1.0, v4
	s_add_i32 s3, s3, -2
	s_cmp_lg_u32 s3, 0
	v_lshrrev_b32_e32 v8, 15, v8
	v_mul_u32_u24_e32 v10, 0xadc8, v8
	v_sub_u32_e32 v7, v7, v10
	v_mul_lo_u32 v7, v7, s9
	v_mul_u32_u24_e32 v8, 0xd47, v8
	v_xor_b32_e32 v10, 0x7fffffff, v8
	v_sub_u32_e32 v11, 0, v8
	v_cmp_lt_u32_e32 vcc, v7, v8
	v_cndmask_b32_e32 v8, v11, v10, vcc
	v_add_u32_e32 v7, v8, v7
	v_mul_hi_u32 v10, v7, s8
	v_add_u32_e32 v8, -1, v7
	v_cvt_f32_u32_e32 v8, v8
	v_lshrrev_b32_e32 v10, 15, v10
	v_mul_u32_u24_e32 v11, 0xadc8, v10
	v_sub_u32_e32 v7, v7, v11
	v_mul_lo_u32 v7, v7, s9
	v_mul_u32_u24_e32 v10, 0xd47, v10
	v_xor_b32_e32 v11, 0x7fffffff, v10
	v_sub_u32_e32 v12, 0, v10
	v_cmp_lt_u32_e32 vcc, v7, v10
	v_cndmask_b32_e32 v10, v12, v11, vcc
	v_add_u32_e32 v7, v10, v7
	v_mul_hi_u32 v11, v7, s8
	v_add_u32_e32 v10, -1, v7
	v_cvt_f32_u32_e32 v10, v10
	v_fma_f32 v8, v8, s10, 0
	v_lshrrev_b32_e32 v11, 15, v11
	v_mul_u32_u24_e32 v12, 0xadc8, v11
	v_fma_f32 v10, v10, s10, 0
	v_sub_u32_e32 v7, v7, v12
	v_mul_f32_e32 v10, v10, v10
	v_mul_lo_u32 v7, v7, s9
	v_fmac_f32_e32 v10, v8, v8
	v_mul_f32_e32 v8, 0x4f800000, v10
	v_cmp_gt_f32_e32 vcc, s11, v10
	v_mul_u32_u24_e32 v11, 0xd47, v11
	v_cndmask_b32_e32 v8, v10, v8, vcc
	v_xor_b32_e32 v12, 0x7fffffff, v11
	v_sub_u32_e32 v13, 0, v11
	v_sqrt_f32_e32 v10, v8
	v_cmp_lt_u32_e64 s[0:1], v7, v11
	v_cndmask_b32_e64 v11, v13, v12, s[0:1]
	v_add_u32_e32 v7, v11, v7
	v_mul_hi_u32 v12, v7, s8
	v_add_u32_e32 v13, -1, v10
	v_add_u32_e32 v14, 1, v10
	v_fma_f32 v15, -v13, v10, v8
	v_fma_f32 v16, -v14, v10, v8
	v_cmp_ge_f32_e64 s[0:1], 0, v15
	v_cndmask_b32_e64 v10, v10, v13, s[0:1]
	v_cmp_lt_f32_e64 s[0:1], 0, v16
	v_lshrrev_b32_e32 v12, 15, v12
	v_cndmask_b32_e64 v10, v10, v14, s[0:1]
	v_mul_u32_u24_e32 v14, 0xadc8, v12
	v_add_u32_e32 v11, -1, v7
	v_sub_u32_e32 v7, v7, v14
	v_mul_f32_e32 v13, 0x37800000, v10
	v_mul_lo_u32 v7, v7, s9
	v_cndmask_b32_e32 v10, v10, v13, vcc
	v_cmp_class_f32_e32 vcc, v8, v6
	v_cndmask_b32_e32 v8, v10, v8, vcc
	v_mul_u32_u24_e32 v12, 0xd47, v12
	v_cmp_nge_f32_e32 vcc, 1.0, v8
	v_xor_b32_e32 v13, 0x7fffffff, v12
	v_sub_u32_e32 v14, 0, v12
	v_cndmask_b32_e32 v4, v9, v4, vcc
	v_cmp_lt_u32_e32 vcc, v7, v12
	v_cndmask_b32_e32 v9, v14, v13, vcc
	v_add_u32_e32 v7, v9, v7
	v_add_u32_e32 v9, -1, v7
	v_cvt_f32_u32_e32 v9, v9
	v_cvt_f32_u32_e32 v11, v11
	v_add_f32_e32 v8, 1.0, v4
	v_fma_f32 v9, v9, s10, 0
	v_fma_f32 v11, v11, s10, 0
	v_mul_f32_e32 v9, v9, v9
	v_fmac_f32_e32 v9, v11, v11
	v_mul_f32_e32 v10, 0x4f800000, v9
	v_cmp_gt_f32_e32 vcc, s11, v9
	v_cndmask_b32_e32 v9, v9, v10, vcc
	v_sqrt_f32_e32 v10, v9
	v_add_u32_e32 v11, -1, v10
	v_add_u32_e32 v12, 1, v10
	v_fma_f32 v13, -v11, v10, v9
	v_fma_f32 v14, -v12, v10, v9
	v_cmp_ge_f32_e64 s[0:1], 0, v13
	v_cndmask_b32_e64 v10, v10, v11, s[0:1]
	v_cmp_lt_f32_e64 s[0:1], 0, v14
	v_cndmask_b32_e64 v10, v10, v12, s[0:1]
	v_mul_f32_e32 v11, 0x37800000, v10
	v_cndmask_b32_e32 v10, v10, v11, vcc
	v_cmp_class_f32_e32 vcc, v9, v6
	v_cndmask_b32_e32 v9, v10, v9, vcc
	v_cmp_nge_f32_e32 vcc, 1.0, v9
	v_cndmask_b32_e32 v4, v8, v4, vcc
	s_cbranch_scc1 .LBB31_12
; %bb.13:
	v_add_u32_e32 v6, 0x7f156116, v5
	v_lshrrev_b32_e32 v7, 19, v6
	v_xor_b32_e32 v6, v6, v7
	v_xor_b32_e32 v6, 0xc761c23c, v6
	v_lshl_add_u32 v6, v6, 5, v6
	v_mov_b32_e32 v8, 0xaccf6200
	v_add_u32_e32 v7, 0xe9f8cc1d, v6
	v_lshl_add_u32 v6, v6, 9, v8
	v_xor_b32_e32 v6, v7, v6
	v_lshlrev_b32_e32 v7, 3, v6
	s_mov_b32 s0, 0xfd7046c5
	v_add3_u32 v6, v6, v7, s0
	v_xor_b32_sdwa v6, v6, v6 dst_sel:DWORD dst_unused:UNUSED_PAD src0_sel:DWORD src1_sel:WORD_1
	v_xor_b32_e32 v7, 0xb55a4f09, v6
	v_mul_hi_u32 v6, v7, 3
	s_brev_b32 s0, -2
	s_movk_i32 s3, 0x2710
	s_mov_b32 s8, 0xbc8f1391
	v_sub_u32_e32 v8, v7, v6
	v_lshrrev_b32_e32 v8, 1, v8
	v_add_u32_e32 v6, v8, v6
	v_lshrrev_b32_e32 v6, 30, v6
	v_mul_lo_u32 v8, v6, s0
	v_mov_b32_e32 v6, 0
	s_mov_b32 s9, 0xbc8f
	s_brev_b32 s10, 12
	v_sub_u32_e32 v7, v7, v8
	v_max_u32_e32 v8, 1, v7
	s_mov_b32 s11, 0xf800000
	v_mov_b32_e32 v7, 0x260
.LBB31_14:                              ; =>This Inner Loop Header: Depth=1
	v_mul_hi_u32 v9, v8, s8
	v_add_f32_e32 v10, 1.0, v6
	s_add_i32 s3, s3, -2
	s_cmp_lg_u32 s3, 0
	v_lshrrev_b32_e32 v9, 15, v9
	v_mul_u32_u24_e32 v11, 0xadc8, v9
	v_sub_u32_e32 v8, v8, v11
	v_mul_lo_u32 v8, v8, s9
	v_mul_u32_u24_e32 v9, 0xd47, v9
	v_xor_b32_e32 v11, 0x7fffffff, v9
	v_sub_u32_e32 v12, 0, v9
	v_cmp_lt_u32_e32 vcc, v8, v9
	v_cndmask_b32_e32 v9, v12, v11, vcc
	v_add_u32_e32 v8, v9, v8
	v_mul_hi_u32 v11, v8, s8
	v_add_u32_e32 v9, -1, v8
	v_cvt_f32_u32_e32 v9, v9
	v_lshrrev_b32_e32 v11, 15, v11
	v_mul_u32_u24_e32 v12, 0xadc8, v11
	v_sub_u32_e32 v8, v8, v12
	v_mul_lo_u32 v8, v8, s9
	v_mul_u32_u24_e32 v11, 0xd47, v11
	v_xor_b32_e32 v12, 0x7fffffff, v11
	v_sub_u32_e32 v13, 0, v11
	v_cmp_lt_u32_e32 vcc, v8, v11
	v_cndmask_b32_e32 v11, v13, v12, vcc
	v_add_u32_e32 v8, v11, v8
	v_mul_hi_u32 v12, v8, s8
	v_add_u32_e32 v11, -1, v8
	v_cvt_f32_u32_e32 v11, v11
	v_fma_f32 v9, v9, s10, 0
	v_lshrrev_b32_e32 v12, 15, v12
	v_mul_u32_u24_e32 v13, 0xadc8, v12
	v_fma_f32 v11, v11, s10, 0
	v_sub_u32_e32 v8, v8, v13
	v_mul_f32_e32 v11, v11, v11
	v_mul_lo_u32 v8, v8, s9
	v_fmac_f32_e32 v11, v9, v9
	v_mul_f32_e32 v9, 0x4f800000, v11
	v_cmp_gt_f32_e32 vcc, s11, v11
	v_mul_u32_u24_e32 v12, 0xd47, v12
	v_cndmask_b32_e32 v9, v11, v9, vcc
	v_xor_b32_e32 v13, 0x7fffffff, v12
	v_sub_u32_e32 v14, 0, v12
	v_sqrt_f32_e32 v11, v9
	v_cmp_lt_u32_e64 s[0:1], v8, v12
	v_cndmask_b32_e64 v12, v14, v13, s[0:1]
	v_add_u32_e32 v8, v12, v8
	v_mul_hi_u32 v13, v8, s8
	v_add_u32_e32 v14, -1, v11
	v_add_u32_e32 v15, 1, v11
	v_fma_f32 v16, -v14, v11, v9
	v_fma_f32 v17, -v15, v11, v9
	v_cmp_ge_f32_e64 s[0:1], 0, v16
	v_cndmask_b32_e64 v11, v11, v14, s[0:1]
	v_cmp_lt_f32_e64 s[0:1], 0, v17
	v_lshrrev_b32_e32 v13, 15, v13
	v_cndmask_b32_e64 v11, v11, v15, s[0:1]
	v_mul_u32_u24_e32 v15, 0xadc8, v13
	v_add_u32_e32 v12, -1, v8
	v_sub_u32_e32 v8, v8, v15
	v_mul_f32_e32 v14, 0x37800000, v11
	v_mul_lo_u32 v8, v8, s9
	v_cndmask_b32_e32 v11, v11, v14, vcc
	v_cmp_class_f32_e32 vcc, v9, v7
	v_cndmask_b32_e32 v9, v11, v9, vcc
	v_mul_u32_u24_e32 v13, 0xd47, v13
	v_cmp_nge_f32_e32 vcc, 1.0, v9
	v_xor_b32_e32 v14, 0x7fffffff, v13
	v_sub_u32_e32 v15, 0, v13
	v_cndmask_b32_e32 v6, v10, v6, vcc
	v_cmp_lt_u32_e32 vcc, v8, v13
	v_cndmask_b32_e32 v10, v15, v14, vcc
	v_add_u32_e32 v8, v10, v8
	v_add_u32_e32 v10, -1, v8
	v_cvt_f32_u32_e32 v10, v10
	v_cvt_f32_u32_e32 v12, v12
	v_add_f32_e32 v9, 1.0, v6
	v_fma_f32 v10, v10, s10, 0
	v_fma_f32 v12, v12, s10, 0
	v_mul_f32_e32 v10, v10, v10
	v_fmac_f32_e32 v10, v12, v12
	v_mul_f32_e32 v11, 0x4f800000, v10
	v_cmp_gt_f32_e32 vcc, s11, v10
	v_cndmask_b32_e32 v10, v10, v11, vcc
	v_sqrt_f32_e32 v11, v10
	v_add_u32_e32 v12, -1, v11
	v_add_u32_e32 v13, 1, v11
	v_fma_f32 v14, -v12, v11, v10
	v_fma_f32 v15, -v13, v11, v10
	v_cmp_ge_f32_e64 s[0:1], 0, v14
	v_cndmask_b32_e64 v11, v11, v12, s[0:1]
	v_cmp_lt_f32_e64 s[0:1], 0, v15
	v_cndmask_b32_e64 v11, v11, v13, s[0:1]
	v_mul_f32_e32 v12, 0x37800000, v11
	v_cndmask_b32_e32 v11, v11, v12, vcc
	v_cmp_class_f32_e32 vcc, v10, v7
	v_cndmask_b32_e32 v10, v11, v10, vcc
	v_cmp_nge_f32_e32 vcc, 1.0, v10
	v_cndmask_b32_e32 v6, v9, v6, vcc
	s_cbranch_scc1 .LBB31_14
; %bb.15:
	v_add_u32_e32 v7, 0x7f256216, v5
	v_lshrrev_b32_e32 v8, 19, v7
	v_xor_b32_e32 v7, v7, v8
	v_xor_b32_e32 v7, 0xc761c23c, v7
	v_lshl_add_u32 v7, v7, 5, v7
	v_mov_b32_e32 v9, 0xaccf6200
	v_add_u32_e32 v8, 0xe9f8cc1d, v7
	v_lshl_add_u32 v7, v7, 9, v9
	v_xor_b32_e32 v7, v8, v7
	v_lshlrev_b32_e32 v8, 3, v7
	s_mov_b32 s0, 0xfd7046c5
	v_add3_u32 v7, v7, v8, s0
	v_xor_b32_sdwa v7, v7, v7 dst_sel:DWORD dst_unused:UNUSED_PAD src0_sel:DWORD src1_sel:WORD_1
	v_xor_b32_e32 v8, 0xb55a4f09, v7
	v_mul_hi_u32 v7, v8, 3
	s_brev_b32 s0, -2
	s_movk_i32 s3, 0x2710
	s_mov_b32 s8, 0xbc8f1391
	v_sub_u32_e32 v9, v8, v7
	v_lshrrev_b32_e32 v9, 1, v9
	v_add_u32_e32 v7, v9, v7
	v_lshrrev_b32_e32 v7, 30, v7
	v_mul_lo_u32 v9, v7, s0
	v_mov_b32_e32 v7, 0
	s_mov_b32 s9, 0xbc8f
	s_brev_b32 s10, 12
	v_sub_u32_e32 v8, v8, v9
	v_max_u32_e32 v9, 1, v8
	s_mov_b32 s11, 0xf800000
	v_mov_b32_e32 v8, 0x260
.LBB31_16:                              ; =>This Inner Loop Header: Depth=1
	v_mul_hi_u32 v10, v9, s8
	v_add_f32_e32 v11, 1.0, v7
	s_add_i32 s3, s3, -2
	s_cmp_lg_u32 s3, 0
	v_lshrrev_b32_e32 v10, 15, v10
	v_mul_u32_u24_e32 v12, 0xadc8, v10
	v_sub_u32_e32 v9, v9, v12
	v_mul_lo_u32 v9, v9, s9
	v_mul_u32_u24_e32 v10, 0xd47, v10
	v_xor_b32_e32 v12, 0x7fffffff, v10
	v_sub_u32_e32 v13, 0, v10
	v_cmp_lt_u32_e32 vcc, v9, v10
	v_cndmask_b32_e32 v10, v13, v12, vcc
	v_add_u32_e32 v9, v10, v9
	v_mul_hi_u32 v12, v9, s8
	v_add_u32_e32 v10, -1, v9
	v_cvt_f32_u32_e32 v10, v10
	v_lshrrev_b32_e32 v12, 15, v12
	v_mul_u32_u24_e32 v13, 0xadc8, v12
	v_sub_u32_e32 v9, v9, v13
	v_mul_lo_u32 v9, v9, s9
	v_mul_u32_u24_e32 v12, 0xd47, v12
	v_xor_b32_e32 v13, 0x7fffffff, v12
	v_sub_u32_e32 v14, 0, v12
	v_cmp_lt_u32_e32 vcc, v9, v12
	v_cndmask_b32_e32 v12, v14, v13, vcc
	v_add_u32_e32 v9, v12, v9
	v_mul_hi_u32 v13, v9, s8
	v_add_u32_e32 v12, -1, v9
	v_cvt_f32_u32_e32 v12, v12
	v_fma_f32 v10, v10, s10, 0
	v_lshrrev_b32_e32 v13, 15, v13
	v_mul_u32_u24_e32 v14, 0xadc8, v13
	v_fma_f32 v12, v12, s10, 0
	v_sub_u32_e32 v9, v9, v14
	v_mul_f32_e32 v12, v12, v12
	v_mul_lo_u32 v9, v9, s9
	v_fmac_f32_e32 v12, v10, v10
	v_mul_f32_e32 v10, 0x4f800000, v12
	v_cmp_gt_f32_e32 vcc, s11, v12
	v_mul_u32_u24_e32 v13, 0xd47, v13
	v_cndmask_b32_e32 v10, v12, v10, vcc
	v_xor_b32_e32 v14, 0x7fffffff, v13
	v_sub_u32_e32 v15, 0, v13
	v_sqrt_f32_e32 v12, v10
	v_cmp_lt_u32_e64 s[0:1], v9, v13
	v_cndmask_b32_e64 v13, v15, v14, s[0:1]
	v_add_u32_e32 v9, v13, v9
	v_mul_hi_u32 v14, v9, s8
	v_add_u32_e32 v15, -1, v12
	v_add_u32_e32 v16, 1, v12
	v_fma_f32 v17, -v15, v12, v10
	v_fma_f32 v18, -v16, v12, v10
	v_cmp_ge_f32_e64 s[0:1], 0, v17
	v_cndmask_b32_e64 v12, v12, v15, s[0:1]
	v_cmp_lt_f32_e64 s[0:1], 0, v18
	v_lshrrev_b32_e32 v14, 15, v14
	v_cndmask_b32_e64 v12, v12, v16, s[0:1]
	v_mul_u32_u24_e32 v16, 0xadc8, v14
	v_add_u32_e32 v13, -1, v9
	v_sub_u32_e32 v9, v9, v16
	v_mul_f32_e32 v15, 0x37800000, v12
	v_mul_lo_u32 v9, v9, s9
	v_cndmask_b32_e32 v12, v12, v15, vcc
	v_cmp_class_f32_e32 vcc, v10, v8
	v_cndmask_b32_e32 v10, v12, v10, vcc
	v_mul_u32_u24_e32 v14, 0xd47, v14
	v_cmp_nge_f32_e32 vcc, 1.0, v10
	v_xor_b32_e32 v15, 0x7fffffff, v14
	v_sub_u32_e32 v16, 0, v14
	v_cndmask_b32_e32 v7, v11, v7, vcc
	v_cmp_lt_u32_e32 vcc, v9, v14
	v_cndmask_b32_e32 v11, v16, v15, vcc
	v_add_u32_e32 v9, v11, v9
	v_add_u32_e32 v11, -1, v9
	v_cvt_f32_u32_e32 v11, v11
	v_cvt_f32_u32_e32 v13, v13
	v_add_f32_e32 v10, 1.0, v7
	v_fma_f32 v11, v11, s10, 0
	v_fma_f32 v13, v13, s10, 0
	v_mul_f32_e32 v11, v11, v11
	v_fmac_f32_e32 v11, v13, v13
	v_mul_f32_e32 v12, 0x4f800000, v11
	v_cmp_gt_f32_e32 vcc, s11, v11
	v_cndmask_b32_e32 v11, v11, v12, vcc
	v_sqrt_f32_e32 v12, v11
	v_add_u32_e32 v13, -1, v12
	v_add_u32_e32 v14, 1, v12
	v_fma_f32 v15, -v13, v12, v11
	v_fma_f32 v16, -v14, v12, v11
	v_cmp_ge_f32_e64 s[0:1], 0, v15
	v_cndmask_b32_e64 v12, v12, v13, s[0:1]
	v_cmp_lt_f32_e64 s[0:1], 0, v16
	v_cndmask_b32_e64 v12, v12, v14, s[0:1]
	v_mul_f32_e32 v13, 0x37800000, v12
	v_cndmask_b32_e32 v12, v12, v13, vcc
	v_cmp_class_f32_e32 vcc, v11, v8
	v_cndmask_b32_e32 v11, v12, v11, vcc
	v_cmp_nge_f32_e32 vcc, 1.0, v11
	v_cndmask_b32_e32 v7, v10, v7, vcc
	s_cbranch_scc1 .LBB31_16
; %bb.17:
	v_add_u32_e32 v8, 0x7f356316, v5
	v_lshrrev_b32_e32 v9, 19, v8
	v_xor_b32_e32 v8, v8, v9
	v_xor_b32_e32 v8, 0xc761c23c, v8
	v_lshl_add_u32 v8, v8, 5, v8
	v_mov_b32_e32 v10, 0xaccf6200
	v_add_u32_e32 v9, 0xe9f8cc1d, v8
	v_lshl_add_u32 v8, v8, 9, v10
	v_xor_b32_e32 v8, v9, v8
	v_lshlrev_b32_e32 v9, 3, v8
	s_mov_b32 s0, 0xfd7046c5
	v_add3_u32 v8, v8, v9, s0
	v_xor_b32_sdwa v8, v8, v8 dst_sel:DWORD dst_unused:UNUSED_PAD src0_sel:DWORD src1_sel:WORD_1
	v_xor_b32_e32 v9, 0xb55a4f09, v8
	v_mul_hi_u32 v8, v9, 3
	s_brev_b32 s0, -2
	s_movk_i32 s3, 0x2710
	s_mov_b32 s8, 0xbc8f1391
	v_sub_u32_e32 v10, v9, v8
	v_lshrrev_b32_e32 v10, 1, v10
	v_add_u32_e32 v8, v10, v8
	v_lshrrev_b32_e32 v8, 30, v8
	v_mul_lo_u32 v10, v8, s0
	v_mov_b32_e32 v8, 0
	s_mov_b32 s9, 0xbc8f
	s_brev_b32 s10, 12
	v_sub_u32_e32 v9, v9, v10
	v_max_u32_e32 v10, 1, v9
	s_mov_b32 s11, 0xf800000
	v_mov_b32_e32 v9, 0x260
.LBB31_18:                              ; =>This Inner Loop Header: Depth=1
	v_mul_hi_u32 v11, v10, s8
	v_add_f32_e32 v12, 1.0, v8
	s_add_i32 s3, s3, -2
	s_cmp_lg_u32 s3, 0
	v_lshrrev_b32_e32 v11, 15, v11
	v_mul_u32_u24_e32 v13, 0xadc8, v11
	v_sub_u32_e32 v10, v10, v13
	v_mul_lo_u32 v10, v10, s9
	v_mul_u32_u24_e32 v11, 0xd47, v11
	v_xor_b32_e32 v13, 0x7fffffff, v11
	v_sub_u32_e32 v14, 0, v11
	v_cmp_lt_u32_e32 vcc, v10, v11
	v_cndmask_b32_e32 v11, v14, v13, vcc
	v_add_u32_e32 v10, v11, v10
	v_mul_hi_u32 v13, v10, s8
	v_add_u32_e32 v11, -1, v10
	v_cvt_f32_u32_e32 v11, v11
	v_lshrrev_b32_e32 v13, 15, v13
	v_mul_u32_u24_e32 v14, 0xadc8, v13
	v_sub_u32_e32 v10, v10, v14
	v_mul_lo_u32 v10, v10, s9
	v_mul_u32_u24_e32 v13, 0xd47, v13
	v_xor_b32_e32 v14, 0x7fffffff, v13
	v_sub_u32_e32 v15, 0, v13
	v_cmp_lt_u32_e32 vcc, v10, v13
	v_cndmask_b32_e32 v13, v15, v14, vcc
	v_add_u32_e32 v10, v13, v10
	v_mul_hi_u32 v14, v10, s8
	v_add_u32_e32 v13, -1, v10
	v_cvt_f32_u32_e32 v13, v13
	v_fma_f32 v11, v11, s10, 0
	v_lshrrev_b32_e32 v14, 15, v14
	v_mul_u32_u24_e32 v15, 0xadc8, v14
	v_fma_f32 v13, v13, s10, 0
	v_sub_u32_e32 v10, v10, v15
	v_mul_f32_e32 v13, v13, v13
	v_mul_lo_u32 v10, v10, s9
	v_fmac_f32_e32 v13, v11, v11
	v_mul_f32_e32 v11, 0x4f800000, v13
	v_cmp_gt_f32_e32 vcc, s11, v13
	v_mul_u32_u24_e32 v14, 0xd47, v14
	v_cndmask_b32_e32 v11, v13, v11, vcc
	v_xor_b32_e32 v15, 0x7fffffff, v14
	v_sub_u32_e32 v16, 0, v14
	v_sqrt_f32_e32 v13, v11
	v_cmp_lt_u32_e64 s[0:1], v10, v14
	v_cndmask_b32_e64 v14, v16, v15, s[0:1]
	v_add_u32_e32 v10, v14, v10
	v_mul_hi_u32 v15, v10, s8
	v_add_u32_e32 v16, -1, v13
	v_add_u32_e32 v17, 1, v13
	v_fma_f32 v18, -v16, v13, v11
	v_fma_f32 v19, -v17, v13, v11
	v_cmp_ge_f32_e64 s[0:1], 0, v18
	v_cndmask_b32_e64 v13, v13, v16, s[0:1]
	v_cmp_lt_f32_e64 s[0:1], 0, v19
	v_lshrrev_b32_e32 v15, 15, v15
	v_cndmask_b32_e64 v13, v13, v17, s[0:1]
	v_mul_u32_u24_e32 v17, 0xadc8, v15
	v_add_u32_e32 v14, -1, v10
	v_sub_u32_e32 v10, v10, v17
	v_mul_f32_e32 v16, 0x37800000, v13
	v_mul_lo_u32 v10, v10, s9
	v_cndmask_b32_e32 v13, v13, v16, vcc
	v_cmp_class_f32_e32 vcc, v11, v9
	v_cndmask_b32_e32 v11, v13, v11, vcc
	v_mul_u32_u24_e32 v15, 0xd47, v15
	v_cmp_nge_f32_e32 vcc, 1.0, v11
	v_xor_b32_e32 v16, 0x7fffffff, v15
	v_sub_u32_e32 v17, 0, v15
	v_cndmask_b32_e32 v8, v12, v8, vcc
	v_cmp_lt_u32_e32 vcc, v10, v15
	v_cndmask_b32_e32 v12, v17, v16, vcc
	v_add_u32_e32 v10, v12, v10
	v_add_u32_e32 v12, -1, v10
	v_cvt_f32_u32_e32 v12, v12
	v_cvt_f32_u32_e32 v14, v14
	v_add_f32_e32 v11, 1.0, v8
	v_fma_f32 v12, v12, s10, 0
	v_fma_f32 v14, v14, s10, 0
	v_mul_f32_e32 v12, v12, v12
	v_fmac_f32_e32 v12, v14, v14
	v_mul_f32_e32 v13, 0x4f800000, v12
	v_cmp_gt_f32_e32 vcc, s11, v12
	v_cndmask_b32_e32 v12, v12, v13, vcc
	v_sqrt_f32_e32 v13, v12
	v_add_u32_e32 v14, -1, v13
	v_add_u32_e32 v15, 1, v13
	v_fma_f32 v16, -v14, v13, v12
	v_fma_f32 v17, -v15, v13, v12
	v_cmp_ge_f32_e64 s[0:1], 0, v16
	v_cndmask_b32_e64 v13, v13, v14, s[0:1]
	v_cmp_lt_f32_e64 s[0:1], 0, v17
	v_cndmask_b32_e64 v13, v13, v15, s[0:1]
	v_mul_f32_e32 v14, 0x37800000, v13
	v_cndmask_b32_e32 v13, v13, v14, vcc
	v_cmp_class_f32_e32 vcc, v12, v9
	v_cndmask_b32_e32 v12, v13, v12, vcc
	v_cmp_nge_f32_e32 vcc, 1.0, v12
	v_cndmask_b32_e32 v8, v11, v8, vcc
	s_cbranch_scc1 .LBB31_18
; %bb.19:
	v_add_u32_e32 v9, 0x7f456416, v5
	v_lshrrev_b32_e32 v10, 19, v9
	v_xor_b32_e32 v9, v9, v10
	v_xor_b32_e32 v9, 0xc761c23c, v9
	v_lshl_add_u32 v9, v9, 5, v9
	v_mov_b32_e32 v11, 0xaccf6200
	v_add_u32_e32 v10, 0xe9f8cc1d, v9
	v_lshl_add_u32 v9, v9, 9, v11
	v_xor_b32_e32 v9, v10, v9
	v_lshlrev_b32_e32 v10, 3, v9
	s_mov_b32 s0, 0xfd7046c5
	v_add3_u32 v9, v9, v10, s0
	v_xor_b32_sdwa v9, v9, v9 dst_sel:DWORD dst_unused:UNUSED_PAD src0_sel:DWORD src1_sel:WORD_1
	v_xor_b32_e32 v10, 0xb55a4f09, v9
	v_mul_hi_u32 v9, v10, 3
	s_brev_b32 s0, -2
	s_movk_i32 s3, 0x2710
	s_mov_b32 s8, 0xbc8f1391
	v_sub_u32_e32 v11, v10, v9
	v_lshrrev_b32_e32 v11, 1, v11
	v_add_u32_e32 v9, v11, v9
	v_lshrrev_b32_e32 v9, 30, v9
	v_mul_lo_u32 v11, v9, s0
	v_mov_b32_e32 v9, 0
	s_mov_b32 s9, 0xbc8f
	s_brev_b32 s10, 12
	v_sub_u32_e32 v10, v10, v11
	v_max_u32_e32 v11, 1, v10
	s_mov_b32 s11, 0xf800000
	v_mov_b32_e32 v10, 0x260
.LBB31_20:                              ; =>This Inner Loop Header: Depth=1
	v_mul_hi_u32 v12, v11, s8
	v_add_f32_e32 v13, 1.0, v9
	s_add_i32 s3, s3, -2
	s_cmp_lg_u32 s3, 0
	v_lshrrev_b32_e32 v12, 15, v12
	v_mul_u32_u24_e32 v14, 0xadc8, v12
	v_sub_u32_e32 v11, v11, v14
	v_mul_lo_u32 v11, v11, s9
	v_mul_u32_u24_e32 v12, 0xd47, v12
	v_xor_b32_e32 v14, 0x7fffffff, v12
	v_sub_u32_e32 v15, 0, v12
	v_cmp_lt_u32_e32 vcc, v11, v12
	v_cndmask_b32_e32 v12, v15, v14, vcc
	v_add_u32_e32 v11, v12, v11
	v_mul_hi_u32 v14, v11, s8
	v_add_u32_e32 v12, -1, v11
	v_cvt_f32_u32_e32 v12, v12
	v_lshrrev_b32_e32 v14, 15, v14
	v_mul_u32_u24_e32 v15, 0xadc8, v14
	v_sub_u32_e32 v11, v11, v15
	v_mul_lo_u32 v11, v11, s9
	v_mul_u32_u24_e32 v14, 0xd47, v14
	v_xor_b32_e32 v15, 0x7fffffff, v14
	v_sub_u32_e32 v16, 0, v14
	v_cmp_lt_u32_e32 vcc, v11, v14
	v_cndmask_b32_e32 v14, v16, v15, vcc
	v_add_u32_e32 v11, v14, v11
	v_mul_hi_u32 v15, v11, s8
	v_add_u32_e32 v14, -1, v11
	v_cvt_f32_u32_e32 v14, v14
	v_fma_f32 v12, v12, s10, 0
	v_lshrrev_b32_e32 v15, 15, v15
	v_mul_u32_u24_e32 v16, 0xadc8, v15
	v_fma_f32 v14, v14, s10, 0
	v_sub_u32_e32 v11, v11, v16
	v_mul_f32_e32 v14, v14, v14
	v_mul_lo_u32 v11, v11, s9
	v_fmac_f32_e32 v14, v12, v12
	v_mul_f32_e32 v12, 0x4f800000, v14
	v_cmp_gt_f32_e32 vcc, s11, v14
	v_mul_u32_u24_e32 v15, 0xd47, v15
	v_cndmask_b32_e32 v12, v14, v12, vcc
	v_xor_b32_e32 v16, 0x7fffffff, v15
	v_sub_u32_e32 v17, 0, v15
	v_sqrt_f32_e32 v14, v12
	v_cmp_lt_u32_e64 s[0:1], v11, v15
	v_cndmask_b32_e64 v15, v17, v16, s[0:1]
	v_add_u32_e32 v11, v15, v11
	v_mul_hi_u32 v16, v11, s8
	v_add_u32_e32 v17, -1, v14
	v_add_u32_e32 v18, 1, v14
	v_fma_f32 v19, -v17, v14, v12
	v_fma_f32 v20, -v18, v14, v12
	v_cmp_ge_f32_e64 s[0:1], 0, v19
	v_cndmask_b32_e64 v14, v14, v17, s[0:1]
	v_cmp_lt_f32_e64 s[0:1], 0, v20
	v_lshrrev_b32_e32 v16, 15, v16
	v_cndmask_b32_e64 v14, v14, v18, s[0:1]
	v_mul_u32_u24_e32 v18, 0xadc8, v16
	v_add_u32_e32 v15, -1, v11
	v_sub_u32_e32 v11, v11, v18
	v_mul_f32_e32 v17, 0x37800000, v14
	v_mul_lo_u32 v11, v11, s9
	v_cndmask_b32_e32 v14, v14, v17, vcc
	v_cmp_class_f32_e32 vcc, v12, v10
	v_cndmask_b32_e32 v12, v14, v12, vcc
	v_mul_u32_u24_e32 v16, 0xd47, v16
	v_cmp_nge_f32_e32 vcc, 1.0, v12
	v_xor_b32_e32 v17, 0x7fffffff, v16
	v_sub_u32_e32 v18, 0, v16
	v_cndmask_b32_e32 v9, v13, v9, vcc
	v_cmp_lt_u32_e32 vcc, v11, v16
	v_cndmask_b32_e32 v13, v18, v17, vcc
	v_add_u32_e32 v11, v13, v11
	v_add_u32_e32 v13, -1, v11
	v_cvt_f32_u32_e32 v13, v13
	v_cvt_f32_u32_e32 v15, v15
	v_add_f32_e32 v12, 1.0, v9
	v_fma_f32 v13, v13, s10, 0
	v_fma_f32 v15, v15, s10, 0
	v_mul_f32_e32 v13, v13, v13
	v_fmac_f32_e32 v13, v15, v15
	v_mul_f32_e32 v14, 0x4f800000, v13
	v_cmp_gt_f32_e32 vcc, s11, v13
	v_cndmask_b32_e32 v13, v13, v14, vcc
	v_sqrt_f32_e32 v14, v13
	v_add_u32_e32 v15, -1, v14
	v_add_u32_e32 v16, 1, v14
	v_fma_f32 v17, -v15, v14, v13
	v_fma_f32 v18, -v16, v14, v13
	v_cmp_ge_f32_e64 s[0:1], 0, v17
	v_cndmask_b32_e64 v14, v14, v15, s[0:1]
	v_cmp_lt_f32_e64 s[0:1], 0, v18
	v_cndmask_b32_e64 v14, v14, v16, s[0:1]
	v_mul_f32_e32 v15, 0x37800000, v14
	v_cndmask_b32_e32 v14, v14, v15, vcc
	v_cmp_class_f32_e32 vcc, v13, v10
	v_cndmask_b32_e32 v13, v14, v13, vcc
	v_cmp_nge_f32_e32 vcc, 1.0, v13
	v_cndmask_b32_e32 v9, v12, v9, vcc
	s_cbranch_scc1 .LBB31_20
; %bb.21:
	v_add_u32_e32 v10, 0x7f556516, v5
	v_lshrrev_b32_e32 v11, 19, v10
	v_xor_b32_e32 v10, v10, v11
	v_xor_b32_e32 v10, 0xc761c23c, v10
	v_lshl_add_u32 v10, v10, 5, v10
	v_mov_b32_e32 v12, 0xaccf6200
	v_add_u32_e32 v11, 0xe9f8cc1d, v10
	v_lshl_add_u32 v10, v10, 9, v12
	v_xor_b32_e32 v10, v11, v10
	v_lshlrev_b32_e32 v11, 3, v10
	s_mov_b32 s0, 0xfd7046c5
	v_add3_u32 v10, v10, v11, s0
	v_xor_b32_sdwa v10, v10, v10 dst_sel:DWORD dst_unused:UNUSED_PAD src0_sel:DWORD src1_sel:WORD_1
	v_xor_b32_e32 v11, 0xb55a4f09, v10
	v_mul_hi_u32 v10, v11, 3
	s_brev_b32 s0, -2
	s_movk_i32 s3, 0x2710
	s_mov_b32 s8, 0xbc8f1391
	v_sub_u32_e32 v12, v11, v10
	v_lshrrev_b32_e32 v12, 1, v12
	v_add_u32_e32 v10, v12, v10
	v_lshrrev_b32_e32 v10, 30, v10
	v_mul_lo_u32 v12, v10, s0
	v_mov_b32_e32 v10, 0
	s_mov_b32 s9, 0xbc8f
	s_brev_b32 s10, 12
	v_sub_u32_e32 v11, v11, v12
	v_max_u32_e32 v12, 1, v11
	s_mov_b32 s11, 0xf800000
	v_mov_b32_e32 v11, 0x260
.LBB31_22:                              ; =>This Inner Loop Header: Depth=1
	v_mul_hi_u32 v13, v12, s8
	v_add_f32_e32 v14, 1.0, v10
	s_add_i32 s3, s3, -2
	s_cmp_lg_u32 s3, 0
	v_lshrrev_b32_e32 v13, 15, v13
	v_mul_u32_u24_e32 v15, 0xadc8, v13
	v_sub_u32_e32 v12, v12, v15
	v_mul_lo_u32 v12, v12, s9
	v_mul_u32_u24_e32 v13, 0xd47, v13
	v_xor_b32_e32 v15, 0x7fffffff, v13
	v_sub_u32_e32 v16, 0, v13
	v_cmp_lt_u32_e32 vcc, v12, v13
	v_cndmask_b32_e32 v13, v16, v15, vcc
	v_add_u32_e32 v12, v13, v12
	v_mul_hi_u32 v15, v12, s8
	v_add_u32_e32 v13, -1, v12
	v_cvt_f32_u32_e32 v13, v13
	v_lshrrev_b32_e32 v15, 15, v15
	v_mul_u32_u24_e32 v16, 0xadc8, v15
	v_sub_u32_e32 v12, v12, v16
	v_mul_lo_u32 v12, v12, s9
	v_mul_u32_u24_e32 v15, 0xd47, v15
	v_xor_b32_e32 v16, 0x7fffffff, v15
	v_sub_u32_e32 v17, 0, v15
	v_cmp_lt_u32_e32 vcc, v12, v15
	v_cndmask_b32_e32 v15, v17, v16, vcc
	v_add_u32_e32 v12, v15, v12
	v_mul_hi_u32 v16, v12, s8
	v_add_u32_e32 v15, -1, v12
	v_cvt_f32_u32_e32 v15, v15
	v_fma_f32 v13, v13, s10, 0
	v_lshrrev_b32_e32 v16, 15, v16
	v_mul_u32_u24_e32 v17, 0xadc8, v16
	v_fma_f32 v15, v15, s10, 0
	v_sub_u32_e32 v12, v12, v17
	v_mul_f32_e32 v15, v15, v15
	v_mul_lo_u32 v12, v12, s9
	v_fmac_f32_e32 v15, v13, v13
	v_mul_f32_e32 v13, 0x4f800000, v15
	v_cmp_gt_f32_e32 vcc, s11, v15
	v_mul_u32_u24_e32 v16, 0xd47, v16
	v_cndmask_b32_e32 v13, v15, v13, vcc
	v_xor_b32_e32 v17, 0x7fffffff, v16
	v_sub_u32_e32 v18, 0, v16
	v_sqrt_f32_e32 v15, v13
	v_cmp_lt_u32_e64 s[0:1], v12, v16
	v_cndmask_b32_e64 v16, v18, v17, s[0:1]
	v_add_u32_e32 v12, v16, v12
	v_mul_hi_u32 v17, v12, s8
	v_add_u32_e32 v18, -1, v15
	v_add_u32_e32 v19, 1, v15
	v_fma_f32 v20, -v18, v15, v13
	v_fma_f32 v21, -v19, v15, v13
	v_cmp_ge_f32_e64 s[0:1], 0, v20
	v_cndmask_b32_e64 v15, v15, v18, s[0:1]
	v_cmp_lt_f32_e64 s[0:1], 0, v21
	v_lshrrev_b32_e32 v17, 15, v17
	v_cndmask_b32_e64 v15, v15, v19, s[0:1]
	v_mul_u32_u24_e32 v19, 0xadc8, v17
	v_add_u32_e32 v16, -1, v12
	v_sub_u32_e32 v12, v12, v19
	v_mul_f32_e32 v18, 0x37800000, v15
	v_mul_lo_u32 v12, v12, s9
	v_cndmask_b32_e32 v15, v15, v18, vcc
	v_cmp_class_f32_e32 vcc, v13, v11
	v_cndmask_b32_e32 v13, v15, v13, vcc
	v_mul_u32_u24_e32 v17, 0xd47, v17
	v_cmp_nge_f32_e32 vcc, 1.0, v13
	v_xor_b32_e32 v18, 0x7fffffff, v17
	v_sub_u32_e32 v19, 0, v17
	v_cndmask_b32_e32 v10, v14, v10, vcc
	v_cmp_lt_u32_e32 vcc, v12, v17
	v_cndmask_b32_e32 v14, v19, v18, vcc
	v_add_u32_e32 v12, v14, v12
	v_add_u32_e32 v14, -1, v12
	v_cvt_f32_u32_e32 v14, v14
	v_cvt_f32_u32_e32 v16, v16
	v_add_f32_e32 v13, 1.0, v10
	v_fma_f32 v14, v14, s10, 0
	v_fma_f32 v16, v16, s10, 0
	v_mul_f32_e32 v14, v14, v14
	v_fmac_f32_e32 v14, v16, v16
	v_mul_f32_e32 v15, 0x4f800000, v14
	v_cmp_gt_f32_e32 vcc, s11, v14
	v_cndmask_b32_e32 v14, v14, v15, vcc
	v_sqrt_f32_e32 v15, v14
	v_add_u32_e32 v16, -1, v15
	v_add_u32_e32 v17, 1, v15
	v_fma_f32 v18, -v16, v15, v14
	v_fma_f32 v19, -v17, v15, v14
	v_cmp_ge_f32_e64 s[0:1], 0, v18
	v_cndmask_b32_e64 v15, v15, v16, s[0:1]
	v_cmp_lt_f32_e64 s[0:1], 0, v19
	v_cndmask_b32_e64 v15, v15, v17, s[0:1]
	v_mul_f32_e32 v16, 0x37800000, v15
	v_cndmask_b32_e32 v15, v15, v16, vcc
	v_cmp_class_f32_e32 vcc, v14, v11
	v_cndmask_b32_e32 v14, v15, v14, vcc
	v_cmp_nge_f32_e32 vcc, 1.0, v14
	v_cndmask_b32_e32 v10, v13, v10, vcc
	s_cbranch_scc1 .LBB31_22
; %bb.23:
	v_add_u32_e32 v11, 0x7f656616, v5
	v_lshrrev_b32_e32 v12, 19, v11
	v_xor_b32_e32 v11, v11, v12
	v_xor_b32_e32 v11, 0xc761c23c, v11
	v_lshl_add_u32 v11, v11, 5, v11
	v_mov_b32_e32 v13, 0xaccf6200
	v_add_u32_e32 v12, 0xe9f8cc1d, v11
	v_lshl_add_u32 v11, v11, 9, v13
	v_xor_b32_e32 v11, v12, v11
	v_lshlrev_b32_e32 v12, 3, v11
	s_mov_b32 s0, 0xfd7046c5
	v_add3_u32 v11, v11, v12, s0
	v_xor_b32_sdwa v11, v11, v11 dst_sel:DWORD dst_unused:UNUSED_PAD src0_sel:DWORD src1_sel:WORD_1
	v_xor_b32_e32 v12, 0xb55a4f09, v11
	v_mul_hi_u32 v11, v12, 3
	s_brev_b32 s0, -2
	s_movk_i32 s3, 0x2710
	s_mov_b32 s8, 0xbc8f1391
	v_sub_u32_e32 v13, v12, v11
	v_lshrrev_b32_e32 v13, 1, v13
	v_add_u32_e32 v11, v13, v11
	v_lshrrev_b32_e32 v11, 30, v11
	v_mul_lo_u32 v13, v11, s0
	v_mov_b32_e32 v11, 0
	s_mov_b32 s9, 0xbc8f
	s_brev_b32 s10, 12
	v_sub_u32_e32 v12, v12, v13
	v_max_u32_e32 v13, 1, v12
	s_mov_b32 s11, 0xf800000
	v_mov_b32_e32 v12, 0x260
.LBB31_24:                              ; =>This Inner Loop Header: Depth=1
	v_mul_hi_u32 v14, v13, s8
	v_add_f32_e32 v15, 1.0, v11
	s_add_i32 s3, s3, -2
	s_cmp_lg_u32 s3, 0
	v_lshrrev_b32_e32 v14, 15, v14
	v_mul_u32_u24_e32 v16, 0xadc8, v14
	v_sub_u32_e32 v13, v13, v16
	v_mul_lo_u32 v13, v13, s9
	v_mul_u32_u24_e32 v14, 0xd47, v14
	v_xor_b32_e32 v16, 0x7fffffff, v14
	v_sub_u32_e32 v17, 0, v14
	v_cmp_lt_u32_e32 vcc, v13, v14
	v_cndmask_b32_e32 v14, v17, v16, vcc
	v_add_u32_e32 v13, v14, v13
	v_mul_hi_u32 v16, v13, s8
	v_add_u32_e32 v14, -1, v13
	v_cvt_f32_u32_e32 v14, v14
	v_lshrrev_b32_e32 v16, 15, v16
	v_mul_u32_u24_e32 v17, 0xadc8, v16
	v_sub_u32_e32 v13, v13, v17
	v_mul_lo_u32 v13, v13, s9
	v_mul_u32_u24_e32 v16, 0xd47, v16
	v_xor_b32_e32 v17, 0x7fffffff, v16
	v_sub_u32_e32 v18, 0, v16
	v_cmp_lt_u32_e32 vcc, v13, v16
	v_cndmask_b32_e32 v16, v18, v17, vcc
	v_add_u32_e32 v13, v16, v13
	v_mul_hi_u32 v17, v13, s8
	v_add_u32_e32 v16, -1, v13
	v_cvt_f32_u32_e32 v16, v16
	v_fma_f32 v14, v14, s10, 0
	v_lshrrev_b32_e32 v17, 15, v17
	v_mul_u32_u24_e32 v18, 0xadc8, v17
	v_fma_f32 v16, v16, s10, 0
	v_sub_u32_e32 v13, v13, v18
	v_mul_f32_e32 v16, v16, v16
	v_mul_lo_u32 v13, v13, s9
	v_fmac_f32_e32 v16, v14, v14
	v_mul_f32_e32 v14, 0x4f800000, v16
	v_cmp_gt_f32_e32 vcc, s11, v16
	v_mul_u32_u24_e32 v17, 0xd47, v17
	v_cndmask_b32_e32 v14, v16, v14, vcc
	v_xor_b32_e32 v18, 0x7fffffff, v17
	v_sub_u32_e32 v19, 0, v17
	v_sqrt_f32_e32 v16, v14
	v_cmp_lt_u32_e64 s[0:1], v13, v17
	v_cndmask_b32_e64 v17, v19, v18, s[0:1]
	v_add_u32_e32 v13, v17, v13
	v_mul_hi_u32 v18, v13, s8
	v_add_u32_e32 v19, -1, v16
	v_add_u32_e32 v20, 1, v16
	v_fma_f32 v21, -v19, v16, v14
	v_fma_f32 v22, -v20, v16, v14
	v_cmp_ge_f32_e64 s[0:1], 0, v21
	v_cndmask_b32_e64 v16, v16, v19, s[0:1]
	v_cmp_lt_f32_e64 s[0:1], 0, v22
	v_lshrrev_b32_e32 v18, 15, v18
	v_cndmask_b32_e64 v16, v16, v20, s[0:1]
	v_mul_u32_u24_e32 v20, 0xadc8, v18
	v_add_u32_e32 v17, -1, v13
	v_sub_u32_e32 v13, v13, v20
	v_mul_f32_e32 v19, 0x37800000, v16
	v_mul_lo_u32 v13, v13, s9
	v_cndmask_b32_e32 v16, v16, v19, vcc
	v_cmp_class_f32_e32 vcc, v14, v12
	v_cndmask_b32_e32 v14, v16, v14, vcc
	v_mul_u32_u24_e32 v18, 0xd47, v18
	v_cmp_nge_f32_e32 vcc, 1.0, v14
	v_xor_b32_e32 v19, 0x7fffffff, v18
	v_sub_u32_e32 v20, 0, v18
	v_cndmask_b32_e32 v11, v15, v11, vcc
	v_cmp_lt_u32_e32 vcc, v13, v18
	v_cndmask_b32_e32 v15, v20, v19, vcc
	v_add_u32_e32 v13, v15, v13
	v_add_u32_e32 v15, -1, v13
	v_cvt_f32_u32_e32 v15, v15
	v_cvt_f32_u32_e32 v17, v17
	v_add_f32_e32 v14, 1.0, v11
	v_fma_f32 v15, v15, s10, 0
	v_fma_f32 v17, v17, s10, 0
	v_mul_f32_e32 v15, v15, v15
	v_fmac_f32_e32 v15, v17, v17
	v_mul_f32_e32 v16, 0x4f800000, v15
	v_cmp_gt_f32_e32 vcc, s11, v15
	v_cndmask_b32_e32 v15, v15, v16, vcc
	v_sqrt_f32_e32 v16, v15
	v_add_u32_e32 v17, -1, v16
	v_add_u32_e32 v18, 1, v16
	v_fma_f32 v19, -v17, v16, v15
	v_fma_f32 v20, -v18, v16, v15
	v_cmp_ge_f32_e64 s[0:1], 0, v19
	v_cndmask_b32_e64 v16, v16, v17, s[0:1]
	v_cmp_lt_f32_e64 s[0:1], 0, v20
	v_cndmask_b32_e64 v16, v16, v18, s[0:1]
	v_mul_f32_e32 v17, 0x37800000, v16
	v_cndmask_b32_e32 v16, v16, v17, vcc
	v_cmp_class_f32_e32 vcc, v15, v12
	v_cndmask_b32_e32 v15, v16, v15, vcc
	v_cmp_nge_f32_e32 vcc, 1.0, v15
	v_cndmask_b32_e32 v11, v14, v11, vcc
	s_cbranch_scc1 .LBB31_24
; %bb.25:
	v_add_u32_e32 v12, 0x7f756716, v5
	v_lshrrev_b32_e32 v13, 19, v12
	v_xor_b32_e32 v12, v12, v13
	v_xor_b32_e32 v12, 0xc761c23c, v12
	v_lshl_add_u32 v12, v12, 5, v12
	v_mov_b32_e32 v14, 0xaccf6200
	v_add_u32_e32 v13, 0xe9f8cc1d, v12
	v_lshl_add_u32 v12, v12, 9, v14
	v_xor_b32_e32 v12, v13, v12
	v_lshlrev_b32_e32 v13, 3, v12
	s_mov_b32 s0, 0xfd7046c5
	v_add3_u32 v12, v12, v13, s0
	v_xor_b32_sdwa v12, v12, v12 dst_sel:DWORD dst_unused:UNUSED_PAD src0_sel:DWORD src1_sel:WORD_1
	v_xor_b32_e32 v13, 0xb55a4f09, v12
	v_mul_hi_u32 v12, v13, 3
	s_brev_b32 s0, -2
	s_movk_i32 s3, 0x2710
	s_mov_b32 s8, 0xbc8f1391
	v_sub_u32_e32 v14, v13, v12
	v_lshrrev_b32_e32 v14, 1, v14
	v_add_u32_e32 v12, v14, v12
	v_lshrrev_b32_e32 v12, 30, v12
	v_mul_lo_u32 v14, v12, s0
	v_mov_b32_e32 v12, 0
	s_mov_b32 s9, 0xbc8f
	s_brev_b32 s10, 12
	v_sub_u32_e32 v13, v13, v14
	v_max_u32_e32 v14, 1, v13
	s_mov_b32 s11, 0xf800000
	v_mov_b32_e32 v13, 0x260
.LBB31_26:                              ; =>This Inner Loop Header: Depth=1
	v_mul_hi_u32 v15, v14, s8
	v_add_f32_e32 v16, 1.0, v12
	s_add_i32 s3, s3, -2
	s_cmp_lg_u32 s3, 0
	v_lshrrev_b32_e32 v15, 15, v15
	v_mul_u32_u24_e32 v17, 0xadc8, v15
	v_sub_u32_e32 v14, v14, v17
	v_mul_lo_u32 v14, v14, s9
	v_mul_u32_u24_e32 v15, 0xd47, v15
	v_xor_b32_e32 v17, 0x7fffffff, v15
	v_sub_u32_e32 v18, 0, v15
	v_cmp_lt_u32_e32 vcc, v14, v15
	v_cndmask_b32_e32 v15, v18, v17, vcc
	v_add_u32_e32 v14, v15, v14
	v_mul_hi_u32 v17, v14, s8
	v_add_u32_e32 v15, -1, v14
	v_cvt_f32_u32_e32 v15, v15
	v_lshrrev_b32_e32 v17, 15, v17
	v_mul_u32_u24_e32 v18, 0xadc8, v17
	v_sub_u32_e32 v14, v14, v18
	v_mul_lo_u32 v14, v14, s9
	v_mul_u32_u24_e32 v17, 0xd47, v17
	v_xor_b32_e32 v18, 0x7fffffff, v17
	v_sub_u32_e32 v19, 0, v17
	v_cmp_lt_u32_e32 vcc, v14, v17
	v_cndmask_b32_e32 v17, v19, v18, vcc
	v_add_u32_e32 v14, v17, v14
	v_mul_hi_u32 v18, v14, s8
	v_add_u32_e32 v17, -1, v14
	v_cvt_f32_u32_e32 v17, v17
	v_fma_f32 v15, v15, s10, 0
	v_lshrrev_b32_e32 v18, 15, v18
	v_mul_u32_u24_e32 v19, 0xadc8, v18
	v_fma_f32 v17, v17, s10, 0
	v_sub_u32_e32 v14, v14, v19
	v_mul_f32_e32 v17, v17, v17
	v_mul_lo_u32 v14, v14, s9
	v_fmac_f32_e32 v17, v15, v15
	v_mul_f32_e32 v15, 0x4f800000, v17
	v_cmp_gt_f32_e32 vcc, s11, v17
	v_mul_u32_u24_e32 v18, 0xd47, v18
	v_cndmask_b32_e32 v15, v17, v15, vcc
	v_xor_b32_e32 v19, 0x7fffffff, v18
	v_sub_u32_e32 v20, 0, v18
	v_sqrt_f32_e32 v17, v15
	v_cmp_lt_u32_e64 s[0:1], v14, v18
	v_cndmask_b32_e64 v18, v20, v19, s[0:1]
	v_add_u32_e32 v14, v18, v14
	v_mul_hi_u32 v19, v14, s8
	v_add_u32_e32 v20, -1, v17
	v_add_u32_e32 v21, 1, v17
	v_fma_f32 v22, -v20, v17, v15
	v_fma_f32 v23, -v21, v17, v15
	v_cmp_ge_f32_e64 s[0:1], 0, v22
	v_cndmask_b32_e64 v17, v17, v20, s[0:1]
	v_cmp_lt_f32_e64 s[0:1], 0, v23
	v_lshrrev_b32_e32 v19, 15, v19
	v_cndmask_b32_e64 v17, v17, v21, s[0:1]
	v_mul_u32_u24_e32 v21, 0xadc8, v19
	v_add_u32_e32 v18, -1, v14
	v_sub_u32_e32 v14, v14, v21
	v_mul_f32_e32 v20, 0x37800000, v17
	v_mul_lo_u32 v14, v14, s9
	v_cndmask_b32_e32 v17, v17, v20, vcc
	v_cmp_class_f32_e32 vcc, v15, v13
	v_cndmask_b32_e32 v15, v17, v15, vcc
	v_mul_u32_u24_e32 v19, 0xd47, v19
	v_cmp_nge_f32_e32 vcc, 1.0, v15
	v_xor_b32_e32 v20, 0x7fffffff, v19
	v_sub_u32_e32 v21, 0, v19
	v_cndmask_b32_e32 v12, v16, v12, vcc
	v_cmp_lt_u32_e32 vcc, v14, v19
	v_cndmask_b32_e32 v16, v21, v20, vcc
	v_add_u32_e32 v14, v16, v14
	v_add_u32_e32 v16, -1, v14
	v_cvt_f32_u32_e32 v16, v16
	v_cvt_f32_u32_e32 v18, v18
	v_add_f32_e32 v15, 1.0, v12
	v_fma_f32 v16, v16, s10, 0
	v_fma_f32 v18, v18, s10, 0
	v_mul_f32_e32 v16, v16, v16
	v_fmac_f32_e32 v16, v18, v18
	v_mul_f32_e32 v17, 0x4f800000, v16
	v_cmp_gt_f32_e32 vcc, s11, v16
	v_cndmask_b32_e32 v16, v16, v17, vcc
	v_sqrt_f32_e32 v17, v16
	v_add_u32_e32 v18, -1, v17
	v_add_u32_e32 v19, 1, v17
	v_fma_f32 v20, -v18, v17, v16
	v_fma_f32 v21, -v19, v17, v16
	v_cmp_ge_f32_e64 s[0:1], 0, v20
	v_cndmask_b32_e64 v17, v17, v18, s[0:1]
	v_cmp_lt_f32_e64 s[0:1], 0, v21
	v_cndmask_b32_e64 v17, v17, v19, s[0:1]
	v_mul_f32_e32 v18, 0x37800000, v17
	v_cndmask_b32_e32 v17, v17, v18, vcc
	v_cmp_class_f32_e32 vcc, v16, v13
	v_cndmask_b32_e32 v16, v17, v16, vcc
	v_cmp_nge_f32_e32 vcc, 1.0, v16
	v_cndmask_b32_e32 v12, v15, v12, vcc
	s_cbranch_scc1 .LBB31_26
; %bb.27:
	v_add_u32_e32 v13, 0x7f856816, v5
	v_lshrrev_b32_e32 v14, 19, v13
	v_xor_b32_e32 v13, v13, v14
	v_xor_b32_e32 v13, 0xc761c23c, v13
	v_lshl_add_u32 v13, v13, 5, v13
	v_mov_b32_e32 v15, 0xaccf6200
	v_add_u32_e32 v14, 0xe9f8cc1d, v13
	v_lshl_add_u32 v13, v13, 9, v15
	v_xor_b32_e32 v13, v14, v13
	v_lshlrev_b32_e32 v14, 3, v13
	s_mov_b32 s0, 0xfd7046c5
	v_add3_u32 v13, v13, v14, s0
	v_xor_b32_sdwa v13, v13, v13 dst_sel:DWORD dst_unused:UNUSED_PAD src0_sel:DWORD src1_sel:WORD_1
	v_xor_b32_e32 v14, 0xb55a4f09, v13
	v_mul_hi_u32 v13, v14, 3
	s_brev_b32 s0, -2
	s_movk_i32 s3, 0x2710
	s_mov_b32 s8, 0xbc8f1391
	v_sub_u32_e32 v15, v14, v13
	v_lshrrev_b32_e32 v15, 1, v15
	v_add_u32_e32 v13, v15, v13
	v_lshrrev_b32_e32 v13, 30, v13
	v_mul_lo_u32 v15, v13, s0
	v_mov_b32_e32 v13, 0
	s_mov_b32 s9, 0xbc8f
	s_brev_b32 s10, 12
	v_sub_u32_e32 v14, v14, v15
	v_max_u32_e32 v15, 1, v14
	s_mov_b32 s11, 0xf800000
	v_mov_b32_e32 v14, 0x260
.LBB31_28:                              ; =>This Inner Loop Header: Depth=1
	v_mul_hi_u32 v16, v15, s8
	v_add_f32_e32 v17, 1.0, v13
	s_add_i32 s3, s3, -2
	s_cmp_lg_u32 s3, 0
	v_lshrrev_b32_e32 v16, 15, v16
	v_mul_u32_u24_e32 v18, 0xadc8, v16
	v_sub_u32_e32 v15, v15, v18
	v_mul_lo_u32 v15, v15, s9
	v_mul_u32_u24_e32 v16, 0xd47, v16
	v_xor_b32_e32 v18, 0x7fffffff, v16
	v_sub_u32_e32 v19, 0, v16
	v_cmp_lt_u32_e32 vcc, v15, v16
	v_cndmask_b32_e32 v16, v19, v18, vcc
	v_add_u32_e32 v15, v16, v15
	v_mul_hi_u32 v18, v15, s8
	v_add_u32_e32 v16, -1, v15
	v_cvt_f32_u32_e32 v16, v16
	v_lshrrev_b32_e32 v18, 15, v18
	v_mul_u32_u24_e32 v19, 0xadc8, v18
	v_sub_u32_e32 v15, v15, v19
	v_mul_lo_u32 v15, v15, s9
	v_mul_u32_u24_e32 v18, 0xd47, v18
	v_xor_b32_e32 v19, 0x7fffffff, v18
	v_sub_u32_e32 v20, 0, v18
	v_cmp_lt_u32_e32 vcc, v15, v18
	v_cndmask_b32_e32 v18, v20, v19, vcc
	v_add_u32_e32 v15, v18, v15
	v_mul_hi_u32 v19, v15, s8
	v_add_u32_e32 v18, -1, v15
	v_cvt_f32_u32_e32 v18, v18
	v_fma_f32 v16, v16, s10, 0
	v_lshrrev_b32_e32 v19, 15, v19
	v_mul_u32_u24_e32 v20, 0xadc8, v19
	v_fma_f32 v18, v18, s10, 0
	v_sub_u32_e32 v15, v15, v20
	v_mul_f32_e32 v18, v18, v18
	v_mul_lo_u32 v15, v15, s9
	v_fmac_f32_e32 v18, v16, v16
	v_mul_f32_e32 v16, 0x4f800000, v18
	v_cmp_gt_f32_e32 vcc, s11, v18
	v_mul_u32_u24_e32 v19, 0xd47, v19
	v_cndmask_b32_e32 v16, v18, v16, vcc
	v_xor_b32_e32 v20, 0x7fffffff, v19
	v_sub_u32_e32 v21, 0, v19
	v_sqrt_f32_e32 v18, v16
	v_cmp_lt_u32_e64 s[0:1], v15, v19
	v_cndmask_b32_e64 v19, v21, v20, s[0:1]
	v_add_u32_e32 v15, v19, v15
	v_mul_hi_u32 v20, v15, s8
	v_add_u32_e32 v21, -1, v18
	v_add_u32_e32 v22, 1, v18
	v_fma_f32 v23, -v21, v18, v16
	v_fma_f32 v24, -v22, v18, v16
	v_cmp_ge_f32_e64 s[0:1], 0, v23
	v_cndmask_b32_e64 v18, v18, v21, s[0:1]
	v_cmp_lt_f32_e64 s[0:1], 0, v24
	v_lshrrev_b32_e32 v20, 15, v20
	v_cndmask_b32_e64 v18, v18, v22, s[0:1]
	v_mul_u32_u24_e32 v22, 0xadc8, v20
	v_add_u32_e32 v19, -1, v15
	v_sub_u32_e32 v15, v15, v22
	v_mul_f32_e32 v21, 0x37800000, v18
	v_mul_lo_u32 v15, v15, s9
	v_cndmask_b32_e32 v18, v18, v21, vcc
	v_cmp_class_f32_e32 vcc, v16, v14
	v_cndmask_b32_e32 v16, v18, v16, vcc
	v_mul_u32_u24_e32 v20, 0xd47, v20
	v_cmp_nge_f32_e32 vcc, 1.0, v16
	v_xor_b32_e32 v21, 0x7fffffff, v20
	v_sub_u32_e32 v22, 0, v20
	v_cndmask_b32_e32 v13, v17, v13, vcc
	v_cmp_lt_u32_e32 vcc, v15, v20
	v_cndmask_b32_e32 v17, v22, v21, vcc
	v_add_u32_e32 v15, v17, v15
	v_add_u32_e32 v17, -1, v15
	v_cvt_f32_u32_e32 v17, v17
	v_cvt_f32_u32_e32 v19, v19
	v_add_f32_e32 v16, 1.0, v13
	v_fma_f32 v17, v17, s10, 0
	v_fma_f32 v19, v19, s10, 0
	v_mul_f32_e32 v17, v17, v17
	v_fmac_f32_e32 v17, v19, v19
	v_mul_f32_e32 v18, 0x4f800000, v17
	v_cmp_gt_f32_e32 vcc, s11, v17
	v_cndmask_b32_e32 v17, v17, v18, vcc
	v_sqrt_f32_e32 v18, v17
	v_add_u32_e32 v19, -1, v18
	v_add_u32_e32 v20, 1, v18
	v_fma_f32 v21, -v19, v18, v17
	v_fma_f32 v22, -v20, v18, v17
	v_cmp_ge_f32_e64 s[0:1], 0, v21
	v_cndmask_b32_e64 v18, v18, v19, s[0:1]
	v_cmp_lt_f32_e64 s[0:1], 0, v22
	v_cndmask_b32_e64 v18, v18, v20, s[0:1]
	v_mul_f32_e32 v19, 0x37800000, v18
	v_cndmask_b32_e32 v18, v18, v19, vcc
	v_cmp_class_f32_e32 vcc, v17, v14
	v_cndmask_b32_e32 v17, v18, v17, vcc
	v_cmp_nge_f32_e32 vcc, 1.0, v17
	v_cndmask_b32_e32 v13, v16, v13, vcc
	s_cbranch_scc1 .LBB31_28
; %bb.29:
	v_add_u32_e32 v14, 0x7f956916, v5
	v_lshrrev_b32_e32 v15, 19, v14
	v_xor_b32_e32 v14, v14, v15
	v_xor_b32_e32 v14, 0xc761c23c, v14
	v_lshl_add_u32 v14, v14, 5, v14
	v_mov_b32_e32 v16, 0xaccf6200
	v_add_u32_e32 v15, 0xe9f8cc1d, v14
	v_lshl_add_u32 v14, v14, 9, v16
	v_xor_b32_e32 v14, v15, v14
	v_lshlrev_b32_e32 v15, 3, v14
	s_mov_b32 s0, 0xfd7046c5
	v_add3_u32 v14, v14, v15, s0
	v_xor_b32_sdwa v14, v14, v14 dst_sel:DWORD dst_unused:UNUSED_PAD src0_sel:DWORD src1_sel:WORD_1
	v_xor_b32_e32 v15, 0xb55a4f09, v14
	v_mul_hi_u32 v14, v15, 3
	s_brev_b32 s0, -2
	s_movk_i32 s3, 0x2710
	s_mov_b32 s8, 0xbc8f1391
	v_sub_u32_e32 v16, v15, v14
	v_lshrrev_b32_e32 v16, 1, v16
	v_add_u32_e32 v14, v16, v14
	v_lshrrev_b32_e32 v14, 30, v14
	v_mul_lo_u32 v16, v14, s0
	v_mov_b32_e32 v14, 0
	s_mov_b32 s9, 0xbc8f
	s_brev_b32 s10, 12
	v_sub_u32_e32 v15, v15, v16
	v_max_u32_e32 v16, 1, v15
	s_mov_b32 s11, 0xf800000
	v_mov_b32_e32 v15, 0x260
.LBB31_30:                              ; =>This Inner Loop Header: Depth=1
	v_mul_hi_u32 v17, v16, s8
	v_add_f32_e32 v18, 1.0, v14
	s_add_i32 s3, s3, -2
	s_cmp_lg_u32 s3, 0
	v_lshrrev_b32_e32 v17, 15, v17
	v_mul_u32_u24_e32 v19, 0xadc8, v17
	v_sub_u32_e32 v16, v16, v19
	v_mul_lo_u32 v16, v16, s9
	v_mul_u32_u24_e32 v17, 0xd47, v17
	v_xor_b32_e32 v19, 0x7fffffff, v17
	v_sub_u32_e32 v20, 0, v17
	v_cmp_lt_u32_e32 vcc, v16, v17
	v_cndmask_b32_e32 v17, v20, v19, vcc
	v_add_u32_e32 v16, v17, v16
	v_mul_hi_u32 v19, v16, s8
	v_add_u32_e32 v17, -1, v16
	v_cvt_f32_u32_e32 v17, v17
	v_lshrrev_b32_e32 v19, 15, v19
	v_mul_u32_u24_e32 v20, 0xadc8, v19
	v_sub_u32_e32 v16, v16, v20
	v_mul_lo_u32 v16, v16, s9
	v_mul_u32_u24_e32 v19, 0xd47, v19
	v_xor_b32_e32 v20, 0x7fffffff, v19
	v_sub_u32_e32 v21, 0, v19
	v_cmp_lt_u32_e32 vcc, v16, v19
	v_cndmask_b32_e32 v19, v21, v20, vcc
	v_add_u32_e32 v16, v19, v16
	v_mul_hi_u32 v20, v16, s8
	v_add_u32_e32 v19, -1, v16
	v_cvt_f32_u32_e32 v19, v19
	v_fma_f32 v17, v17, s10, 0
	v_lshrrev_b32_e32 v20, 15, v20
	v_mul_u32_u24_e32 v21, 0xadc8, v20
	v_fma_f32 v19, v19, s10, 0
	v_sub_u32_e32 v16, v16, v21
	v_mul_f32_e32 v19, v19, v19
	v_mul_lo_u32 v16, v16, s9
	v_fmac_f32_e32 v19, v17, v17
	v_mul_f32_e32 v17, 0x4f800000, v19
	v_cmp_gt_f32_e32 vcc, s11, v19
	v_mul_u32_u24_e32 v20, 0xd47, v20
	v_cndmask_b32_e32 v17, v19, v17, vcc
	v_xor_b32_e32 v21, 0x7fffffff, v20
	v_sub_u32_e32 v22, 0, v20
	v_sqrt_f32_e32 v19, v17
	v_cmp_lt_u32_e64 s[0:1], v16, v20
	v_cndmask_b32_e64 v20, v22, v21, s[0:1]
	v_add_u32_e32 v16, v20, v16
	v_mul_hi_u32 v21, v16, s8
	v_add_u32_e32 v22, -1, v19
	v_add_u32_e32 v23, 1, v19
	v_fma_f32 v24, -v22, v19, v17
	v_fma_f32 v25, -v23, v19, v17
	v_cmp_ge_f32_e64 s[0:1], 0, v24
	v_cndmask_b32_e64 v19, v19, v22, s[0:1]
	v_cmp_lt_f32_e64 s[0:1], 0, v25
	v_lshrrev_b32_e32 v21, 15, v21
	v_cndmask_b32_e64 v19, v19, v23, s[0:1]
	v_mul_u32_u24_e32 v23, 0xadc8, v21
	v_add_u32_e32 v20, -1, v16
	v_sub_u32_e32 v16, v16, v23
	v_mul_f32_e32 v22, 0x37800000, v19
	v_mul_lo_u32 v16, v16, s9
	v_cndmask_b32_e32 v19, v19, v22, vcc
	v_cmp_class_f32_e32 vcc, v17, v15
	v_cndmask_b32_e32 v17, v19, v17, vcc
	v_mul_u32_u24_e32 v21, 0xd47, v21
	v_cmp_nge_f32_e32 vcc, 1.0, v17
	v_xor_b32_e32 v22, 0x7fffffff, v21
	v_sub_u32_e32 v23, 0, v21
	v_cndmask_b32_e32 v14, v18, v14, vcc
	v_cmp_lt_u32_e32 vcc, v16, v21
	v_cndmask_b32_e32 v18, v23, v22, vcc
	v_add_u32_e32 v16, v18, v16
	v_add_u32_e32 v18, -1, v16
	v_cvt_f32_u32_e32 v18, v18
	v_cvt_f32_u32_e32 v20, v20
	v_add_f32_e32 v17, 1.0, v14
	v_fma_f32 v18, v18, s10, 0
	v_fma_f32 v20, v20, s10, 0
	v_mul_f32_e32 v18, v18, v18
	v_fmac_f32_e32 v18, v20, v20
	v_mul_f32_e32 v19, 0x4f800000, v18
	v_cmp_gt_f32_e32 vcc, s11, v18
	v_cndmask_b32_e32 v18, v18, v19, vcc
	v_sqrt_f32_e32 v19, v18
	v_add_u32_e32 v20, -1, v19
	v_add_u32_e32 v21, 1, v19
	v_fma_f32 v22, -v20, v19, v18
	v_fma_f32 v23, -v21, v19, v18
	v_cmp_ge_f32_e64 s[0:1], 0, v22
	v_cndmask_b32_e64 v19, v19, v20, s[0:1]
	v_cmp_lt_f32_e64 s[0:1], 0, v23
	v_cndmask_b32_e64 v19, v19, v21, s[0:1]
	v_mul_f32_e32 v20, 0x37800000, v19
	v_cndmask_b32_e32 v19, v19, v20, vcc
	v_cmp_class_f32_e32 vcc, v18, v15
	v_cndmask_b32_e32 v18, v19, v18, vcc
	v_cmp_nge_f32_e32 vcc, 1.0, v18
	v_cndmask_b32_e32 v14, v17, v14, vcc
	s_cbranch_scc1 .LBB31_30
; %bb.31:
	v_add_u32_e32 v15, 0x7fa56a16, v5
	v_lshrrev_b32_e32 v16, 19, v15
	v_xor_b32_e32 v15, v15, v16
	v_xor_b32_e32 v15, 0xc761c23c, v15
	v_lshl_add_u32 v15, v15, 5, v15
	v_mov_b32_e32 v17, 0xaccf6200
	v_add_u32_e32 v16, 0xe9f8cc1d, v15
	v_lshl_add_u32 v15, v15, 9, v17
	v_xor_b32_e32 v15, v16, v15
	v_lshlrev_b32_e32 v16, 3, v15
	s_mov_b32 s0, 0xfd7046c5
	v_add3_u32 v15, v15, v16, s0
	v_xor_b32_sdwa v15, v15, v15 dst_sel:DWORD dst_unused:UNUSED_PAD src0_sel:DWORD src1_sel:WORD_1
	v_xor_b32_e32 v16, 0xb55a4f09, v15
	v_mul_hi_u32 v15, v16, 3
	s_brev_b32 s0, -2
	s_movk_i32 s3, 0x2710
	s_mov_b32 s8, 0xbc8f1391
	v_sub_u32_e32 v17, v16, v15
	v_lshrrev_b32_e32 v17, 1, v17
	v_add_u32_e32 v15, v17, v15
	v_lshrrev_b32_e32 v15, 30, v15
	v_mul_lo_u32 v17, v15, s0
	v_mov_b32_e32 v15, 0
	s_mov_b32 s9, 0xbc8f
	s_brev_b32 s10, 12
	v_sub_u32_e32 v16, v16, v17
	v_max_u32_e32 v17, 1, v16
	s_mov_b32 s11, 0xf800000
	v_mov_b32_e32 v16, 0x260
.LBB31_32:                              ; =>This Inner Loop Header: Depth=1
	v_mul_hi_u32 v18, v17, s8
	v_add_f32_e32 v19, 1.0, v15
	s_add_i32 s3, s3, -2
	s_cmp_lg_u32 s3, 0
	v_lshrrev_b32_e32 v18, 15, v18
	v_mul_u32_u24_e32 v20, 0xadc8, v18
	v_sub_u32_e32 v17, v17, v20
	v_mul_lo_u32 v17, v17, s9
	v_mul_u32_u24_e32 v18, 0xd47, v18
	v_xor_b32_e32 v20, 0x7fffffff, v18
	v_sub_u32_e32 v21, 0, v18
	v_cmp_lt_u32_e32 vcc, v17, v18
	v_cndmask_b32_e32 v18, v21, v20, vcc
	v_add_u32_e32 v17, v18, v17
	v_mul_hi_u32 v20, v17, s8
	v_add_u32_e32 v18, -1, v17
	v_cvt_f32_u32_e32 v18, v18
	v_lshrrev_b32_e32 v20, 15, v20
	v_mul_u32_u24_e32 v21, 0xadc8, v20
	v_sub_u32_e32 v17, v17, v21
	v_mul_lo_u32 v17, v17, s9
	v_mul_u32_u24_e32 v20, 0xd47, v20
	v_xor_b32_e32 v21, 0x7fffffff, v20
	v_sub_u32_e32 v22, 0, v20
	v_cmp_lt_u32_e32 vcc, v17, v20
	v_cndmask_b32_e32 v20, v22, v21, vcc
	v_add_u32_e32 v17, v20, v17
	v_mul_hi_u32 v21, v17, s8
	v_add_u32_e32 v20, -1, v17
	v_cvt_f32_u32_e32 v20, v20
	v_fma_f32 v18, v18, s10, 0
	v_lshrrev_b32_e32 v21, 15, v21
	v_mul_u32_u24_e32 v22, 0xadc8, v21
	v_fma_f32 v20, v20, s10, 0
	v_sub_u32_e32 v17, v17, v22
	v_mul_f32_e32 v20, v20, v20
	v_mul_lo_u32 v17, v17, s9
	v_fmac_f32_e32 v20, v18, v18
	v_mul_f32_e32 v18, 0x4f800000, v20
	v_cmp_gt_f32_e32 vcc, s11, v20
	v_mul_u32_u24_e32 v21, 0xd47, v21
	v_cndmask_b32_e32 v18, v20, v18, vcc
	v_xor_b32_e32 v22, 0x7fffffff, v21
	v_sub_u32_e32 v23, 0, v21
	v_sqrt_f32_e32 v20, v18
	v_cmp_lt_u32_e64 s[0:1], v17, v21
	v_cndmask_b32_e64 v21, v23, v22, s[0:1]
	v_add_u32_e32 v17, v21, v17
	v_mul_hi_u32 v22, v17, s8
	v_add_u32_e32 v23, -1, v20
	v_add_u32_e32 v24, 1, v20
	v_fma_f32 v25, -v23, v20, v18
	v_fma_f32 v26, -v24, v20, v18
	v_cmp_ge_f32_e64 s[0:1], 0, v25
	v_cndmask_b32_e64 v20, v20, v23, s[0:1]
	v_cmp_lt_f32_e64 s[0:1], 0, v26
	v_lshrrev_b32_e32 v22, 15, v22
	v_cndmask_b32_e64 v20, v20, v24, s[0:1]
	v_mul_u32_u24_e32 v24, 0xadc8, v22
	v_add_u32_e32 v21, -1, v17
	v_sub_u32_e32 v17, v17, v24
	v_mul_f32_e32 v23, 0x37800000, v20
	v_mul_lo_u32 v17, v17, s9
	v_cndmask_b32_e32 v20, v20, v23, vcc
	v_cmp_class_f32_e32 vcc, v18, v16
	v_cndmask_b32_e32 v18, v20, v18, vcc
	v_mul_u32_u24_e32 v22, 0xd47, v22
	v_cmp_nge_f32_e32 vcc, 1.0, v18
	v_xor_b32_e32 v23, 0x7fffffff, v22
	v_sub_u32_e32 v24, 0, v22
	v_cndmask_b32_e32 v15, v19, v15, vcc
	v_cmp_lt_u32_e32 vcc, v17, v22
	v_cndmask_b32_e32 v19, v24, v23, vcc
	v_add_u32_e32 v17, v19, v17
	v_add_u32_e32 v19, -1, v17
	v_cvt_f32_u32_e32 v19, v19
	v_cvt_f32_u32_e32 v21, v21
	v_add_f32_e32 v18, 1.0, v15
	v_fma_f32 v19, v19, s10, 0
	v_fma_f32 v21, v21, s10, 0
	v_mul_f32_e32 v19, v19, v19
	v_fmac_f32_e32 v19, v21, v21
	v_mul_f32_e32 v20, 0x4f800000, v19
	v_cmp_gt_f32_e32 vcc, s11, v19
	v_cndmask_b32_e32 v19, v19, v20, vcc
	v_sqrt_f32_e32 v20, v19
	v_add_u32_e32 v21, -1, v20
	v_add_u32_e32 v22, 1, v20
	v_fma_f32 v23, -v21, v20, v19
	v_fma_f32 v24, -v22, v20, v19
	v_cmp_ge_f32_e64 s[0:1], 0, v23
	v_cndmask_b32_e64 v20, v20, v21, s[0:1]
	v_cmp_lt_f32_e64 s[0:1], 0, v24
	v_cndmask_b32_e64 v20, v20, v22, s[0:1]
	v_mul_f32_e32 v21, 0x37800000, v20
	v_cndmask_b32_e32 v20, v20, v21, vcc
	v_cmp_class_f32_e32 vcc, v19, v16
	v_cndmask_b32_e32 v19, v20, v19, vcc
	v_cmp_nge_f32_e32 vcc, 1.0, v19
	v_cndmask_b32_e32 v15, v18, v15, vcc
	s_cbranch_scc1 .LBB31_32
; %bb.33:
	v_add_u32_e32 v16, 0x7fb56b16, v5
	v_lshrrev_b32_e32 v17, 19, v16
	v_xor_b32_e32 v16, v16, v17
	v_xor_b32_e32 v16, 0xc761c23c, v16
	v_lshl_add_u32 v16, v16, 5, v16
	v_mov_b32_e32 v18, 0xaccf6200
	v_add_u32_e32 v17, 0xe9f8cc1d, v16
	v_lshl_add_u32 v16, v16, 9, v18
	v_xor_b32_e32 v16, v17, v16
	v_lshlrev_b32_e32 v17, 3, v16
	s_mov_b32 s0, 0xfd7046c5
	v_add3_u32 v16, v16, v17, s0
	v_xor_b32_sdwa v16, v16, v16 dst_sel:DWORD dst_unused:UNUSED_PAD src0_sel:DWORD src1_sel:WORD_1
	v_xor_b32_e32 v17, 0xb55a4f09, v16
	v_mul_hi_u32 v16, v17, 3
	s_brev_b32 s0, -2
	s_movk_i32 s3, 0x2710
	s_mov_b32 s8, 0xbc8f1391
	v_sub_u32_e32 v18, v17, v16
	v_lshrrev_b32_e32 v18, 1, v18
	v_add_u32_e32 v16, v18, v16
	v_lshrrev_b32_e32 v16, 30, v16
	v_mul_lo_u32 v18, v16, s0
	v_mov_b32_e32 v16, 0
	s_mov_b32 s9, 0xbc8f
	s_brev_b32 s10, 12
	v_sub_u32_e32 v17, v17, v18
	v_max_u32_e32 v18, 1, v17
	s_mov_b32 s11, 0xf800000
	v_mov_b32_e32 v17, 0x260
.LBB31_34:                              ; =>This Inner Loop Header: Depth=1
	v_mul_hi_u32 v19, v18, s8
	v_add_f32_e32 v20, 1.0, v16
	s_add_i32 s3, s3, -2
	s_cmp_lg_u32 s3, 0
	v_lshrrev_b32_e32 v19, 15, v19
	v_mul_u32_u24_e32 v21, 0xadc8, v19
	v_sub_u32_e32 v18, v18, v21
	v_mul_lo_u32 v18, v18, s9
	v_mul_u32_u24_e32 v19, 0xd47, v19
	v_xor_b32_e32 v21, 0x7fffffff, v19
	v_sub_u32_e32 v22, 0, v19
	v_cmp_lt_u32_e32 vcc, v18, v19
	v_cndmask_b32_e32 v19, v22, v21, vcc
	v_add_u32_e32 v18, v19, v18
	v_mul_hi_u32 v21, v18, s8
	v_add_u32_e32 v19, -1, v18
	v_cvt_f32_u32_e32 v19, v19
	v_lshrrev_b32_e32 v21, 15, v21
	v_mul_u32_u24_e32 v22, 0xadc8, v21
	v_sub_u32_e32 v18, v18, v22
	v_mul_lo_u32 v18, v18, s9
	v_mul_u32_u24_e32 v21, 0xd47, v21
	v_xor_b32_e32 v22, 0x7fffffff, v21
	v_sub_u32_e32 v23, 0, v21
	v_cmp_lt_u32_e32 vcc, v18, v21
	v_cndmask_b32_e32 v21, v23, v22, vcc
	v_add_u32_e32 v18, v21, v18
	v_mul_hi_u32 v22, v18, s8
	v_add_u32_e32 v21, -1, v18
	v_cvt_f32_u32_e32 v21, v21
	v_fma_f32 v19, v19, s10, 0
	v_lshrrev_b32_e32 v22, 15, v22
	v_mul_u32_u24_e32 v23, 0xadc8, v22
	v_fma_f32 v21, v21, s10, 0
	v_sub_u32_e32 v18, v18, v23
	v_mul_f32_e32 v21, v21, v21
	v_mul_lo_u32 v18, v18, s9
	v_fmac_f32_e32 v21, v19, v19
	v_mul_f32_e32 v19, 0x4f800000, v21
	v_cmp_gt_f32_e32 vcc, s11, v21
	v_mul_u32_u24_e32 v22, 0xd47, v22
	v_cndmask_b32_e32 v19, v21, v19, vcc
	v_xor_b32_e32 v23, 0x7fffffff, v22
	v_sub_u32_e32 v24, 0, v22
	v_sqrt_f32_e32 v21, v19
	v_cmp_lt_u32_e64 s[0:1], v18, v22
	v_cndmask_b32_e64 v22, v24, v23, s[0:1]
	v_add_u32_e32 v18, v22, v18
	v_mul_hi_u32 v23, v18, s8
	v_add_u32_e32 v24, -1, v21
	v_add_u32_e32 v25, 1, v21
	v_fma_f32 v26, -v24, v21, v19
	v_fma_f32 v27, -v25, v21, v19
	v_cmp_ge_f32_e64 s[0:1], 0, v26
	v_cndmask_b32_e64 v21, v21, v24, s[0:1]
	v_cmp_lt_f32_e64 s[0:1], 0, v27
	v_lshrrev_b32_e32 v23, 15, v23
	v_cndmask_b32_e64 v21, v21, v25, s[0:1]
	v_mul_u32_u24_e32 v25, 0xadc8, v23
	v_add_u32_e32 v22, -1, v18
	v_sub_u32_e32 v18, v18, v25
	v_mul_f32_e32 v24, 0x37800000, v21
	v_mul_lo_u32 v18, v18, s9
	v_cndmask_b32_e32 v21, v21, v24, vcc
	v_cmp_class_f32_e32 vcc, v19, v17
	v_cndmask_b32_e32 v19, v21, v19, vcc
	v_mul_u32_u24_e32 v23, 0xd47, v23
	v_cmp_nge_f32_e32 vcc, 1.0, v19
	v_xor_b32_e32 v24, 0x7fffffff, v23
	v_sub_u32_e32 v25, 0, v23
	v_cndmask_b32_e32 v16, v20, v16, vcc
	v_cmp_lt_u32_e32 vcc, v18, v23
	v_cndmask_b32_e32 v20, v25, v24, vcc
	v_add_u32_e32 v18, v20, v18
	v_add_u32_e32 v20, -1, v18
	v_cvt_f32_u32_e32 v20, v20
	v_cvt_f32_u32_e32 v22, v22
	v_add_f32_e32 v19, 1.0, v16
	v_fma_f32 v20, v20, s10, 0
	v_fma_f32 v22, v22, s10, 0
	v_mul_f32_e32 v20, v20, v20
	v_fmac_f32_e32 v20, v22, v22
	v_mul_f32_e32 v21, 0x4f800000, v20
	v_cmp_gt_f32_e32 vcc, s11, v20
	v_cndmask_b32_e32 v20, v20, v21, vcc
	v_sqrt_f32_e32 v21, v20
	v_add_u32_e32 v22, -1, v21
	v_add_u32_e32 v23, 1, v21
	v_fma_f32 v24, -v22, v21, v20
	v_fma_f32 v25, -v23, v21, v20
	v_cmp_ge_f32_e64 s[0:1], 0, v24
	v_cndmask_b32_e64 v21, v21, v22, s[0:1]
	v_cmp_lt_f32_e64 s[0:1], 0, v25
	v_cndmask_b32_e64 v21, v21, v23, s[0:1]
	v_mul_f32_e32 v22, 0x37800000, v21
	v_cndmask_b32_e32 v21, v21, v22, vcc
	v_cmp_class_f32_e32 vcc, v20, v17
	v_cndmask_b32_e32 v20, v21, v20, vcc
	v_cmp_nge_f32_e32 vcc, 1.0, v20
	v_cndmask_b32_e32 v16, v19, v16, vcc
	s_cbranch_scc1 .LBB31_34
; %bb.35:
	v_add_u32_e32 v17, 0x7fc56c16, v5
	v_lshrrev_b32_e32 v18, 19, v17
	v_xor_b32_e32 v17, v17, v18
	v_xor_b32_e32 v17, 0xc761c23c, v17
	v_lshl_add_u32 v17, v17, 5, v17
	v_mov_b32_e32 v19, 0xaccf6200
	v_add_u32_e32 v18, 0xe9f8cc1d, v17
	v_lshl_add_u32 v17, v17, 9, v19
	v_xor_b32_e32 v17, v18, v17
	v_lshlrev_b32_e32 v18, 3, v17
	s_mov_b32 s0, 0xfd7046c5
	v_add3_u32 v17, v17, v18, s0
	v_xor_b32_sdwa v17, v17, v17 dst_sel:DWORD dst_unused:UNUSED_PAD src0_sel:DWORD src1_sel:WORD_1
	v_xor_b32_e32 v18, 0xb55a4f09, v17
	v_mul_hi_u32 v17, v18, 3
	s_brev_b32 s0, -2
	s_movk_i32 s3, 0x2710
	s_mov_b32 s8, 0xbc8f1391
	v_sub_u32_e32 v19, v18, v17
	v_lshrrev_b32_e32 v19, 1, v19
	v_add_u32_e32 v17, v19, v17
	v_lshrrev_b32_e32 v17, 30, v17
	v_mul_lo_u32 v19, v17, s0
	v_mov_b32_e32 v17, 0
	s_mov_b32 s9, 0xbc8f
	s_brev_b32 s10, 12
	v_sub_u32_e32 v18, v18, v19
	v_max_u32_e32 v19, 1, v18
	s_mov_b32 s11, 0xf800000
	v_mov_b32_e32 v18, 0x260
.LBB31_36:                              ; =>This Inner Loop Header: Depth=1
	v_mul_hi_u32 v20, v19, s8
	v_add_f32_e32 v21, 1.0, v17
	s_add_i32 s3, s3, -2
	s_cmp_lg_u32 s3, 0
	v_lshrrev_b32_e32 v20, 15, v20
	v_mul_u32_u24_e32 v22, 0xadc8, v20
	v_sub_u32_e32 v19, v19, v22
	v_mul_lo_u32 v19, v19, s9
	v_mul_u32_u24_e32 v20, 0xd47, v20
	v_xor_b32_e32 v22, 0x7fffffff, v20
	v_sub_u32_e32 v23, 0, v20
	v_cmp_lt_u32_e32 vcc, v19, v20
	v_cndmask_b32_e32 v20, v23, v22, vcc
	v_add_u32_e32 v19, v20, v19
	v_mul_hi_u32 v22, v19, s8
	v_add_u32_e32 v20, -1, v19
	v_cvt_f32_u32_e32 v20, v20
	v_lshrrev_b32_e32 v22, 15, v22
	v_mul_u32_u24_e32 v23, 0xadc8, v22
	v_sub_u32_e32 v19, v19, v23
	v_mul_lo_u32 v19, v19, s9
	v_mul_u32_u24_e32 v22, 0xd47, v22
	v_xor_b32_e32 v23, 0x7fffffff, v22
	v_sub_u32_e32 v24, 0, v22
	v_cmp_lt_u32_e32 vcc, v19, v22
	v_cndmask_b32_e32 v22, v24, v23, vcc
	v_add_u32_e32 v19, v22, v19
	v_mul_hi_u32 v23, v19, s8
	v_add_u32_e32 v22, -1, v19
	v_cvt_f32_u32_e32 v22, v22
	v_fma_f32 v20, v20, s10, 0
	v_lshrrev_b32_e32 v23, 15, v23
	v_mul_u32_u24_e32 v24, 0xadc8, v23
	v_fma_f32 v22, v22, s10, 0
	v_sub_u32_e32 v19, v19, v24
	v_mul_f32_e32 v22, v22, v22
	v_mul_lo_u32 v19, v19, s9
	v_fmac_f32_e32 v22, v20, v20
	v_mul_f32_e32 v20, 0x4f800000, v22
	v_cmp_gt_f32_e32 vcc, s11, v22
	v_mul_u32_u24_e32 v23, 0xd47, v23
	v_cndmask_b32_e32 v20, v22, v20, vcc
	v_xor_b32_e32 v24, 0x7fffffff, v23
	v_sub_u32_e32 v25, 0, v23
	v_sqrt_f32_e32 v22, v20
	v_cmp_lt_u32_e64 s[0:1], v19, v23
	v_cndmask_b32_e64 v23, v25, v24, s[0:1]
	v_add_u32_e32 v19, v23, v19
	v_mul_hi_u32 v24, v19, s8
	v_add_u32_e32 v25, -1, v22
	v_add_u32_e32 v26, 1, v22
	v_fma_f32 v27, -v25, v22, v20
	v_fma_f32 v28, -v26, v22, v20
	v_cmp_ge_f32_e64 s[0:1], 0, v27
	v_cndmask_b32_e64 v22, v22, v25, s[0:1]
	v_cmp_lt_f32_e64 s[0:1], 0, v28
	v_lshrrev_b32_e32 v24, 15, v24
	v_cndmask_b32_e64 v22, v22, v26, s[0:1]
	v_mul_u32_u24_e32 v26, 0xadc8, v24
	v_add_u32_e32 v23, -1, v19
	v_sub_u32_e32 v19, v19, v26
	v_mul_f32_e32 v25, 0x37800000, v22
	v_mul_lo_u32 v19, v19, s9
	v_cndmask_b32_e32 v22, v22, v25, vcc
	v_cmp_class_f32_e32 vcc, v20, v18
	v_cndmask_b32_e32 v20, v22, v20, vcc
	v_mul_u32_u24_e32 v24, 0xd47, v24
	v_cmp_nge_f32_e32 vcc, 1.0, v20
	v_xor_b32_e32 v25, 0x7fffffff, v24
	v_sub_u32_e32 v26, 0, v24
	v_cndmask_b32_e32 v17, v21, v17, vcc
	v_cmp_lt_u32_e32 vcc, v19, v24
	v_cndmask_b32_e32 v21, v26, v25, vcc
	v_add_u32_e32 v19, v21, v19
	v_add_u32_e32 v21, -1, v19
	v_cvt_f32_u32_e32 v21, v21
	v_cvt_f32_u32_e32 v23, v23
	v_add_f32_e32 v20, 1.0, v17
	v_fma_f32 v21, v21, s10, 0
	v_fma_f32 v23, v23, s10, 0
	v_mul_f32_e32 v21, v21, v21
	v_fmac_f32_e32 v21, v23, v23
	v_mul_f32_e32 v22, 0x4f800000, v21
	v_cmp_gt_f32_e32 vcc, s11, v21
	v_cndmask_b32_e32 v21, v21, v22, vcc
	v_sqrt_f32_e32 v22, v21
	v_add_u32_e32 v23, -1, v22
	v_add_u32_e32 v24, 1, v22
	v_fma_f32 v25, -v23, v22, v21
	v_fma_f32 v26, -v24, v22, v21
	v_cmp_ge_f32_e64 s[0:1], 0, v25
	v_cndmask_b32_e64 v22, v22, v23, s[0:1]
	v_cmp_lt_f32_e64 s[0:1], 0, v26
	v_cndmask_b32_e64 v22, v22, v24, s[0:1]
	v_mul_f32_e32 v23, 0x37800000, v22
	v_cndmask_b32_e32 v22, v22, v23, vcc
	v_cmp_class_f32_e32 vcc, v21, v18
	v_cndmask_b32_e32 v21, v22, v21, vcc
	v_cmp_nge_f32_e32 vcc, 1.0, v21
	v_cndmask_b32_e32 v17, v20, v17, vcc
	s_cbranch_scc1 .LBB31_36
; %bb.37:
	v_add_u32_e32 v18, 0x7fd56d16, v5
	v_lshrrev_b32_e32 v19, 19, v18
	v_xor_b32_e32 v18, v18, v19
	v_xor_b32_e32 v18, 0xc761c23c, v18
	v_lshl_add_u32 v18, v18, 5, v18
	v_mov_b32_e32 v20, 0xaccf6200
	v_add_u32_e32 v19, 0xe9f8cc1d, v18
	v_lshl_add_u32 v18, v18, 9, v20
	v_xor_b32_e32 v18, v19, v18
	v_lshlrev_b32_e32 v19, 3, v18
	s_mov_b32 s0, 0xfd7046c5
	v_add3_u32 v18, v18, v19, s0
	v_xor_b32_sdwa v18, v18, v18 dst_sel:DWORD dst_unused:UNUSED_PAD src0_sel:DWORD src1_sel:WORD_1
	v_xor_b32_e32 v19, 0xb55a4f09, v18
	v_mul_hi_u32 v18, v19, 3
	s_brev_b32 s0, -2
	s_movk_i32 s3, 0x2710
	s_mov_b32 s8, 0xbc8f1391
	v_sub_u32_e32 v20, v19, v18
	v_lshrrev_b32_e32 v20, 1, v20
	v_add_u32_e32 v18, v20, v18
	v_lshrrev_b32_e32 v18, 30, v18
	v_mul_lo_u32 v20, v18, s0
	v_mov_b32_e32 v18, 0
	s_mov_b32 s9, 0xbc8f
	s_brev_b32 s10, 12
	v_sub_u32_e32 v19, v19, v20
	v_max_u32_e32 v20, 1, v19
	s_mov_b32 s11, 0xf800000
	v_mov_b32_e32 v19, 0x260
.LBB31_38:                              ; =>This Inner Loop Header: Depth=1
	v_mul_hi_u32 v21, v20, s8
	v_add_f32_e32 v22, 1.0, v18
	s_add_i32 s3, s3, -2
	s_cmp_lg_u32 s3, 0
	v_lshrrev_b32_e32 v21, 15, v21
	v_mul_u32_u24_e32 v23, 0xadc8, v21
	v_sub_u32_e32 v20, v20, v23
	v_mul_lo_u32 v20, v20, s9
	v_mul_u32_u24_e32 v21, 0xd47, v21
	v_xor_b32_e32 v23, 0x7fffffff, v21
	v_sub_u32_e32 v24, 0, v21
	v_cmp_lt_u32_e32 vcc, v20, v21
	v_cndmask_b32_e32 v21, v24, v23, vcc
	v_add_u32_e32 v20, v21, v20
	v_mul_hi_u32 v23, v20, s8
	v_add_u32_e32 v21, -1, v20
	v_cvt_f32_u32_e32 v21, v21
	v_lshrrev_b32_e32 v23, 15, v23
	v_mul_u32_u24_e32 v24, 0xadc8, v23
	v_sub_u32_e32 v20, v20, v24
	v_mul_lo_u32 v20, v20, s9
	v_mul_u32_u24_e32 v23, 0xd47, v23
	v_xor_b32_e32 v24, 0x7fffffff, v23
	v_sub_u32_e32 v25, 0, v23
	v_cmp_lt_u32_e32 vcc, v20, v23
	v_cndmask_b32_e32 v23, v25, v24, vcc
	v_add_u32_e32 v20, v23, v20
	v_mul_hi_u32 v24, v20, s8
	v_add_u32_e32 v23, -1, v20
	v_cvt_f32_u32_e32 v23, v23
	v_fma_f32 v21, v21, s10, 0
	v_lshrrev_b32_e32 v24, 15, v24
	v_mul_u32_u24_e32 v25, 0xadc8, v24
	v_fma_f32 v23, v23, s10, 0
	v_sub_u32_e32 v20, v20, v25
	v_mul_f32_e32 v23, v23, v23
	v_mul_lo_u32 v20, v20, s9
	v_fmac_f32_e32 v23, v21, v21
	v_mul_f32_e32 v21, 0x4f800000, v23
	v_cmp_gt_f32_e32 vcc, s11, v23
	v_mul_u32_u24_e32 v24, 0xd47, v24
	v_cndmask_b32_e32 v21, v23, v21, vcc
	v_xor_b32_e32 v25, 0x7fffffff, v24
	v_sub_u32_e32 v26, 0, v24
	v_sqrt_f32_e32 v23, v21
	v_cmp_lt_u32_e64 s[0:1], v20, v24
	v_cndmask_b32_e64 v24, v26, v25, s[0:1]
	v_add_u32_e32 v20, v24, v20
	v_mul_hi_u32 v25, v20, s8
	v_add_u32_e32 v26, -1, v23
	v_add_u32_e32 v27, 1, v23
	v_fma_f32 v28, -v26, v23, v21
	v_fma_f32 v29, -v27, v23, v21
	v_cmp_ge_f32_e64 s[0:1], 0, v28
	v_cndmask_b32_e64 v23, v23, v26, s[0:1]
	v_cmp_lt_f32_e64 s[0:1], 0, v29
	v_lshrrev_b32_e32 v25, 15, v25
	v_cndmask_b32_e64 v23, v23, v27, s[0:1]
	v_mul_u32_u24_e32 v27, 0xadc8, v25
	v_add_u32_e32 v24, -1, v20
	v_sub_u32_e32 v20, v20, v27
	v_mul_f32_e32 v26, 0x37800000, v23
	v_mul_lo_u32 v20, v20, s9
	v_cndmask_b32_e32 v23, v23, v26, vcc
	v_cmp_class_f32_e32 vcc, v21, v19
	v_cndmask_b32_e32 v21, v23, v21, vcc
	v_mul_u32_u24_e32 v25, 0xd47, v25
	v_cmp_nge_f32_e32 vcc, 1.0, v21
	v_xor_b32_e32 v26, 0x7fffffff, v25
	v_sub_u32_e32 v27, 0, v25
	v_cndmask_b32_e32 v18, v22, v18, vcc
	v_cmp_lt_u32_e32 vcc, v20, v25
	v_cndmask_b32_e32 v22, v27, v26, vcc
	v_add_u32_e32 v20, v22, v20
	v_add_u32_e32 v22, -1, v20
	v_cvt_f32_u32_e32 v22, v22
	v_cvt_f32_u32_e32 v24, v24
	v_add_f32_e32 v21, 1.0, v18
	v_fma_f32 v22, v22, s10, 0
	v_fma_f32 v24, v24, s10, 0
	v_mul_f32_e32 v22, v22, v22
	v_fmac_f32_e32 v22, v24, v24
	v_mul_f32_e32 v23, 0x4f800000, v22
	v_cmp_gt_f32_e32 vcc, s11, v22
	v_cndmask_b32_e32 v22, v22, v23, vcc
	v_sqrt_f32_e32 v23, v22
	v_add_u32_e32 v24, -1, v23
	v_add_u32_e32 v25, 1, v23
	v_fma_f32 v26, -v24, v23, v22
	v_fma_f32 v27, -v25, v23, v22
	v_cmp_ge_f32_e64 s[0:1], 0, v26
	v_cndmask_b32_e64 v23, v23, v24, s[0:1]
	v_cmp_lt_f32_e64 s[0:1], 0, v27
	v_cndmask_b32_e64 v23, v23, v25, s[0:1]
	v_mul_f32_e32 v24, 0x37800000, v23
	v_cndmask_b32_e32 v23, v23, v24, vcc
	v_cmp_class_f32_e32 vcc, v22, v19
	v_cndmask_b32_e32 v22, v23, v22, vcc
	v_cmp_nge_f32_e32 vcc, 1.0, v22
	v_cndmask_b32_e32 v18, v21, v18, vcc
	s_cbranch_scc1 .LBB31_38
; %bb.39:
	v_add_u32_e32 v19, 0x7fe56e16, v5
	v_lshrrev_b32_e32 v20, 19, v19
	v_xor_b32_e32 v19, v19, v20
	v_xor_b32_e32 v19, 0xc761c23c, v19
	v_lshl_add_u32 v19, v19, 5, v19
	v_mov_b32_e32 v21, 0xaccf6200
	v_add_u32_e32 v20, 0xe9f8cc1d, v19
	v_lshl_add_u32 v19, v19, 9, v21
	v_xor_b32_e32 v19, v20, v19
	v_lshlrev_b32_e32 v20, 3, v19
	s_mov_b32 s0, 0xfd7046c5
	v_add3_u32 v19, v19, v20, s0
	v_xor_b32_sdwa v19, v19, v19 dst_sel:DWORD dst_unused:UNUSED_PAD src0_sel:DWORD src1_sel:WORD_1
	v_xor_b32_e32 v20, 0xb55a4f09, v19
	v_mul_hi_u32 v19, v20, 3
	s_brev_b32 s0, -2
	s_movk_i32 s3, 0x2710
	s_mov_b32 s8, 0xbc8f1391
	v_sub_u32_e32 v21, v20, v19
	v_lshrrev_b32_e32 v21, 1, v21
	v_add_u32_e32 v19, v21, v19
	v_lshrrev_b32_e32 v19, 30, v19
	v_mul_lo_u32 v21, v19, s0
	v_mov_b32_e32 v19, 0
	s_mov_b32 s9, 0xbc8f
	s_brev_b32 s10, 12
	v_sub_u32_e32 v20, v20, v21
	v_max_u32_e32 v21, 1, v20
	s_mov_b32 s11, 0xf800000
	v_mov_b32_e32 v20, 0x260
.LBB31_40:                              ; =>This Inner Loop Header: Depth=1
	v_mul_hi_u32 v22, v21, s8
	v_add_f32_e32 v23, 1.0, v19
	s_add_i32 s3, s3, -2
	s_cmp_lg_u32 s3, 0
	v_lshrrev_b32_e32 v22, 15, v22
	v_mul_u32_u24_e32 v24, 0xadc8, v22
	v_sub_u32_e32 v21, v21, v24
	v_mul_lo_u32 v21, v21, s9
	v_mul_u32_u24_e32 v22, 0xd47, v22
	v_xor_b32_e32 v24, 0x7fffffff, v22
	v_sub_u32_e32 v25, 0, v22
	v_cmp_lt_u32_e32 vcc, v21, v22
	v_cndmask_b32_e32 v22, v25, v24, vcc
	v_add_u32_e32 v21, v22, v21
	v_mul_hi_u32 v24, v21, s8
	v_add_u32_e32 v22, -1, v21
	v_cvt_f32_u32_e32 v22, v22
	v_lshrrev_b32_e32 v24, 15, v24
	v_mul_u32_u24_e32 v25, 0xadc8, v24
	v_sub_u32_e32 v21, v21, v25
	v_mul_lo_u32 v21, v21, s9
	v_mul_u32_u24_e32 v24, 0xd47, v24
	v_xor_b32_e32 v25, 0x7fffffff, v24
	v_sub_u32_e32 v26, 0, v24
	v_cmp_lt_u32_e32 vcc, v21, v24
	v_cndmask_b32_e32 v24, v26, v25, vcc
	v_add_u32_e32 v21, v24, v21
	v_mul_hi_u32 v25, v21, s8
	v_add_u32_e32 v24, -1, v21
	v_cvt_f32_u32_e32 v24, v24
	v_fma_f32 v22, v22, s10, 0
	v_lshrrev_b32_e32 v25, 15, v25
	v_mul_u32_u24_e32 v26, 0xadc8, v25
	v_fma_f32 v24, v24, s10, 0
	v_sub_u32_e32 v21, v21, v26
	v_mul_f32_e32 v24, v24, v24
	v_mul_lo_u32 v21, v21, s9
	v_fmac_f32_e32 v24, v22, v22
	v_mul_f32_e32 v22, 0x4f800000, v24
	v_cmp_gt_f32_e32 vcc, s11, v24
	v_mul_u32_u24_e32 v25, 0xd47, v25
	v_cndmask_b32_e32 v22, v24, v22, vcc
	v_xor_b32_e32 v26, 0x7fffffff, v25
	v_sub_u32_e32 v27, 0, v25
	v_sqrt_f32_e32 v24, v22
	v_cmp_lt_u32_e64 s[0:1], v21, v25
	v_cndmask_b32_e64 v25, v27, v26, s[0:1]
	v_add_u32_e32 v21, v25, v21
	v_mul_hi_u32 v26, v21, s8
	v_add_u32_e32 v27, -1, v24
	v_add_u32_e32 v28, 1, v24
	v_fma_f32 v29, -v27, v24, v22
	v_fma_f32 v30, -v28, v24, v22
	v_cmp_ge_f32_e64 s[0:1], 0, v29
	v_cndmask_b32_e64 v24, v24, v27, s[0:1]
	v_cmp_lt_f32_e64 s[0:1], 0, v30
	v_lshrrev_b32_e32 v26, 15, v26
	v_cndmask_b32_e64 v24, v24, v28, s[0:1]
	v_mul_u32_u24_e32 v28, 0xadc8, v26
	v_add_u32_e32 v25, -1, v21
	v_sub_u32_e32 v21, v21, v28
	v_mul_f32_e32 v27, 0x37800000, v24
	v_mul_lo_u32 v21, v21, s9
	v_cndmask_b32_e32 v24, v24, v27, vcc
	v_cmp_class_f32_e32 vcc, v22, v20
	v_cndmask_b32_e32 v22, v24, v22, vcc
	v_mul_u32_u24_e32 v26, 0xd47, v26
	v_cmp_nge_f32_e32 vcc, 1.0, v22
	v_xor_b32_e32 v27, 0x7fffffff, v26
	v_sub_u32_e32 v28, 0, v26
	v_cndmask_b32_e32 v19, v23, v19, vcc
	v_cmp_lt_u32_e32 vcc, v21, v26
	v_cndmask_b32_e32 v23, v28, v27, vcc
	v_add_u32_e32 v21, v23, v21
	v_add_u32_e32 v23, -1, v21
	v_cvt_f32_u32_e32 v23, v23
	v_cvt_f32_u32_e32 v25, v25
	v_add_f32_e32 v22, 1.0, v19
	v_fma_f32 v23, v23, s10, 0
	v_fma_f32 v25, v25, s10, 0
	v_mul_f32_e32 v23, v23, v23
	v_fmac_f32_e32 v23, v25, v25
	v_mul_f32_e32 v24, 0x4f800000, v23
	v_cmp_gt_f32_e32 vcc, s11, v23
	v_cndmask_b32_e32 v23, v23, v24, vcc
	v_sqrt_f32_e32 v24, v23
	v_add_u32_e32 v25, -1, v24
	v_add_u32_e32 v26, 1, v24
	v_fma_f32 v27, -v25, v24, v23
	v_fma_f32 v28, -v26, v24, v23
	v_cmp_ge_f32_e64 s[0:1], 0, v27
	v_cndmask_b32_e64 v24, v24, v25, s[0:1]
	v_cmp_lt_f32_e64 s[0:1], 0, v28
	v_cndmask_b32_e64 v24, v24, v26, s[0:1]
	v_mul_f32_e32 v25, 0x37800000, v24
	v_cndmask_b32_e32 v24, v24, v25, vcc
	v_cmp_class_f32_e32 vcc, v23, v20
	v_cndmask_b32_e32 v23, v24, v23, vcc
	v_cmp_nge_f32_e32 vcc, 1.0, v23
	v_cndmask_b32_e32 v19, v22, v19, vcc
	s_cbranch_scc1 .LBB31_40
; %bb.41:
	v_add_u32_e32 v20, 0x7ff56f16, v5
	v_lshrrev_b32_e32 v21, 19, v20
	v_xor_b32_e32 v20, v20, v21
	v_xor_b32_e32 v20, 0xc761c23c, v20
	v_lshl_add_u32 v20, v20, 5, v20
	v_mov_b32_e32 v22, 0xaccf6200
	v_add_u32_e32 v21, 0xe9f8cc1d, v20
	v_lshl_add_u32 v20, v20, 9, v22
	v_xor_b32_e32 v20, v21, v20
	v_lshlrev_b32_e32 v21, 3, v20
	s_mov_b32 s0, 0xfd7046c5
	v_add3_u32 v20, v20, v21, s0
	v_xor_b32_sdwa v20, v20, v20 dst_sel:DWORD dst_unused:UNUSED_PAD src0_sel:DWORD src1_sel:WORD_1
	v_xor_b32_e32 v21, 0xb55a4f09, v20
	v_mul_hi_u32 v20, v21, 3
	s_brev_b32 s0, -2
	s_movk_i32 s3, 0x2710
	s_mov_b32 s8, 0xbc8f1391
	v_sub_u32_e32 v22, v21, v20
	v_lshrrev_b32_e32 v22, 1, v22
	v_add_u32_e32 v20, v22, v20
	v_lshrrev_b32_e32 v20, 30, v20
	v_mul_lo_u32 v22, v20, s0
	v_mov_b32_e32 v20, 0
	s_mov_b32 s9, 0xbc8f
	s_brev_b32 s10, 12
	v_sub_u32_e32 v21, v21, v22
	v_max_u32_e32 v22, 1, v21
	s_mov_b32 s11, 0xf800000
	v_mov_b32_e32 v21, 0x260
.LBB31_42:                              ; =>This Inner Loop Header: Depth=1
	v_mul_hi_u32 v23, v22, s8
	v_add_f32_e32 v24, 1.0, v20
	s_add_i32 s3, s3, -2
	s_cmp_lg_u32 s3, 0
	v_lshrrev_b32_e32 v23, 15, v23
	v_mul_u32_u24_e32 v25, 0xadc8, v23
	v_sub_u32_e32 v22, v22, v25
	v_mul_lo_u32 v22, v22, s9
	v_mul_u32_u24_e32 v23, 0xd47, v23
	v_xor_b32_e32 v25, 0x7fffffff, v23
	v_sub_u32_e32 v26, 0, v23
	v_cmp_lt_u32_e32 vcc, v22, v23
	v_cndmask_b32_e32 v23, v26, v25, vcc
	v_add_u32_e32 v22, v23, v22
	v_mul_hi_u32 v25, v22, s8
	v_add_u32_e32 v23, -1, v22
	v_cvt_f32_u32_e32 v23, v23
	v_lshrrev_b32_e32 v25, 15, v25
	v_mul_u32_u24_e32 v26, 0xadc8, v25
	v_sub_u32_e32 v22, v22, v26
	v_mul_lo_u32 v22, v22, s9
	v_mul_u32_u24_e32 v25, 0xd47, v25
	v_xor_b32_e32 v26, 0x7fffffff, v25
	v_sub_u32_e32 v27, 0, v25
	v_cmp_lt_u32_e32 vcc, v22, v25
	v_cndmask_b32_e32 v25, v27, v26, vcc
	v_add_u32_e32 v22, v25, v22
	v_mul_hi_u32 v26, v22, s8
	v_add_u32_e32 v25, -1, v22
	v_cvt_f32_u32_e32 v25, v25
	v_fma_f32 v23, v23, s10, 0
	v_lshrrev_b32_e32 v26, 15, v26
	v_mul_u32_u24_e32 v27, 0xadc8, v26
	v_fma_f32 v25, v25, s10, 0
	v_sub_u32_e32 v22, v22, v27
	v_mul_f32_e32 v25, v25, v25
	v_mul_lo_u32 v22, v22, s9
	v_fmac_f32_e32 v25, v23, v23
	v_mul_f32_e32 v23, 0x4f800000, v25
	v_cmp_gt_f32_e32 vcc, s11, v25
	v_mul_u32_u24_e32 v26, 0xd47, v26
	v_cndmask_b32_e32 v23, v25, v23, vcc
	v_xor_b32_e32 v27, 0x7fffffff, v26
	v_sub_u32_e32 v28, 0, v26
	v_sqrt_f32_e32 v25, v23
	v_cmp_lt_u32_e64 s[0:1], v22, v26
	v_cndmask_b32_e64 v26, v28, v27, s[0:1]
	v_add_u32_e32 v22, v26, v22
	v_mul_hi_u32 v27, v22, s8
	v_add_u32_e32 v28, -1, v25
	v_add_u32_e32 v29, 1, v25
	v_fma_f32 v30, -v28, v25, v23
	v_fma_f32 v31, -v29, v25, v23
	v_cmp_ge_f32_e64 s[0:1], 0, v30
	v_cndmask_b32_e64 v25, v25, v28, s[0:1]
	v_cmp_lt_f32_e64 s[0:1], 0, v31
	v_lshrrev_b32_e32 v27, 15, v27
	v_cndmask_b32_e64 v25, v25, v29, s[0:1]
	v_mul_u32_u24_e32 v29, 0xadc8, v27
	v_add_u32_e32 v26, -1, v22
	v_sub_u32_e32 v22, v22, v29
	v_mul_f32_e32 v28, 0x37800000, v25
	v_mul_lo_u32 v22, v22, s9
	v_cndmask_b32_e32 v25, v25, v28, vcc
	v_cmp_class_f32_e32 vcc, v23, v21
	v_cndmask_b32_e32 v23, v25, v23, vcc
	v_mul_u32_u24_e32 v27, 0xd47, v27
	v_cmp_nge_f32_e32 vcc, 1.0, v23
	v_xor_b32_e32 v28, 0x7fffffff, v27
	v_sub_u32_e32 v29, 0, v27
	v_cndmask_b32_e32 v20, v24, v20, vcc
	v_cmp_lt_u32_e32 vcc, v22, v27
	v_cndmask_b32_e32 v24, v29, v28, vcc
	v_add_u32_e32 v22, v24, v22
	v_add_u32_e32 v24, -1, v22
	v_cvt_f32_u32_e32 v24, v24
	v_cvt_f32_u32_e32 v26, v26
	v_add_f32_e32 v23, 1.0, v20
	v_fma_f32 v24, v24, s10, 0
	v_fma_f32 v26, v26, s10, 0
	v_mul_f32_e32 v24, v24, v24
	v_fmac_f32_e32 v24, v26, v26
	v_mul_f32_e32 v25, 0x4f800000, v24
	v_cmp_gt_f32_e32 vcc, s11, v24
	v_cndmask_b32_e32 v24, v24, v25, vcc
	v_sqrt_f32_e32 v25, v24
	v_add_u32_e32 v26, -1, v25
	v_add_u32_e32 v27, 1, v25
	v_fma_f32 v28, -v26, v25, v24
	v_fma_f32 v29, -v27, v25, v24
	v_cmp_ge_f32_e64 s[0:1], 0, v28
	v_cndmask_b32_e64 v25, v25, v26, s[0:1]
	v_cmp_lt_f32_e64 s[0:1], 0, v29
	v_cndmask_b32_e64 v25, v25, v27, s[0:1]
	v_mul_f32_e32 v26, 0x37800000, v25
	v_cndmask_b32_e32 v25, v25, v26, vcc
	v_cmp_class_f32_e32 vcc, v24, v21
	v_cndmask_b32_e32 v24, v25, v24, vcc
	v_cmp_nge_f32_e32 vcc, 1.0, v24
	v_cndmask_b32_e32 v20, v23, v20, vcc
	s_cbranch_scc1 .LBB31_42
; %bb.43:
	v_add_u32_e32 v21, 0x80057016, v5
	v_lshrrev_b32_e32 v22, 19, v21
	v_xor_b32_e32 v21, v21, v22
	v_xor_b32_e32 v21, 0xc761c23c, v21
	v_lshl_add_u32 v21, v21, 5, v21
	v_mov_b32_e32 v23, 0xaccf6200
	v_add_u32_e32 v22, 0xe9f8cc1d, v21
	v_lshl_add_u32 v21, v21, 9, v23
	v_xor_b32_e32 v21, v22, v21
	v_lshlrev_b32_e32 v22, 3, v21
	s_mov_b32 s0, 0xfd7046c5
	v_add3_u32 v21, v21, v22, s0
	v_xor_b32_sdwa v21, v21, v21 dst_sel:DWORD dst_unused:UNUSED_PAD src0_sel:DWORD src1_sel:WORD_1
	v_xor_b32_e32 v22, 0xb55a4f09, v21
	v_mul_hi_u32 v21, v22, 3
	s_brev_b32 s0, -2
	s_movk_i32 s3, 0x2710
	s_mov_b32 s8, 0xbc8f1391
	v_sub_u32_e32 v23, v22, v21
	v_lshrrev_b32_e32 v23, 1, v23
	v_add_u32_e32 v21, v23, v21
	v_lshrrev_b32_e32 v21, 30, v21
	v_mul_lo_u32 v23, v21, s0
	v_mov_b32_e32 v21, 0
	s_mov_b32 s9, 0xbc8f
	s_brev_b32 s10, 12
	v_sub_u32_e32 v22, v22, v23
	v_max_u32_e32 v23, 1, v22
	s_mov_b32 s11, 0xf800000
	v_mov_b32_e32 v22, 0x260
.LBB31_44:                              ; =>This Inner Loop Header: Depth=1
	v_mul_hi_u32 v24, v23, s8
	v_add_f32_e32 v25, 1.0, v21
	s_add_i32 s3, s3, -2
	s_cmp_lg_u32 s3, 0
	v_lshrrev_b32_e32 v24, 15, v24
	v_mul_u32_u24_e32 v26, 0xadc8, v24
	v_sub_u32_e32 v23, v23, v26
	v_mul_lo_u32 v23, v23, s9
	v_mul_u32_u24_e32 v24, 0xd47, v24
	v_xor_b32_e32 v26, 0x7fffffff, v24
	v_sub_u32_e32 v27, 0, v24
	v_cmp_lt_u32_e32 vcc, v23, v24
	v_cndmask_b32_e32 v24, v27, v26, vcc
	v_add_u32_e32 v23, v24, v23
	v_mul_hi_u32 v26, v23, s8
	v_add_u32_e32 v24, -1, v23
	v_cvt_f32_u32_e32 v24, v24
	v_lshrrev_b32_e32 v26, 15, v26
	v_mul_u32_u24_e32 v27, 0xadc8, v26
	v_sub_u32_e32 v23, v23, v27
	v_mul_lo_u32 v23, v23, s9
	v_mul_u32_u24_e32 v26, 0xd47, v26
	v_xor_b32_e32 v27, 0x7fffffff, v26
	v_sub_u32_e32 v28, 0, v26
	v_cmp_lt_u32_e32 vcc, v23, v26
	v_cndmask_b32_e32 v26, v28, v27, vcc
	v_add_u32_e32 v23, v26, v23
	v_mul_hi_u32 v27, v23, s8
	v_add_u32_e32 v26, -1, v23
	v_cvt_f32_u32_e32 v26, v26
	v_fma_f32 v24, v24, s10, 0
	v_lshrrev_b32_e32 v27, 15, v27
	v_mul_u32_u24_e32 v28, 0xadc8, v27
	v_fma_f32 v26, v26, s10, 0
	v_sub_u32_e32 v23, v23, v28
	v_mul_f32_e32 v26, v26, v26
	v_mul_lo_u32 v23, v23, s9
	v_fmac_f32_e32 v26, v24, v24
	v_mul_f32_e32 v24, 0x4f800000, v26
	v_cmp_gt_f32_e32 vcc, s11, v26
	v_mul_u32_u24_e32 v27, 0xd47, v27
	v_cndmask_b32_e32 v24, v26, v24, vcc
	v_xor_b32_e32 v28, 0x7fffffff, v27
	v_sub_u32_e32 v29, 0, v27
	v_sqrt_f32_e32 v26, v24
	v_cmp_lt_u32_e64 s[0:1], v23, v27
	v_cndmask_b32_e64 v27, v29, v28, s[0:1]
	v_add_u32_e32 v23, v27, v23
	v_mul_hi_u32 v28, v23, s8
	v_add_u32_e32 v29, -1, v26
	v_add_u32_e32 v30, 1, v26
	v_fma_f32 v31, -v29, v26, v24
	v_fma_f32 v32, -v30, v26, v24
	v_cmp_ge_f32_e64 s[0:1], 0, v31
	v_cndmask_b32_e64 v26, v26, v29, s[0:1]
	v_cmp_lt_f32_e64 s[0:1], 0, v32
	v_lshrrev_b32_e32 v28, 15, v28
	v_cndmask_b32_e64 v26, v26, v30, s[0:1]
	v_mul_u32_u24_e32 v30, 0xadc8, v28
	v_add_u32_e32 v27, -1, v23
	v_sub_u32_e32 v23, v23, v30
	v_mul_f32_e32 v29, 0x37800000, v26
	v_mul_lo_u32 v23, v23, s9
	v_cndmask_b32_e32 v26, v26, v29, vcc
	v_cmp_class_f32_e32 vcc, v24, v22
	v_cndmask_b32_e32 v24, v26, v24, vcc
	v_mul_u32_u24_e32 v28, 0xd47, v28
	v_cmp_nge_f32_e32 vcc, 1.0, v24
	v_xor_b32_e32 v29, 0x7fffffff, v28
	v_sub_u32_e32 v30, 0, v28
	v_cndmask_b32_e32 v21, v25, v21, vcc
	v_cmp_lt_u32_e32 vcc, v23, v28
	v_cndmask_b32_e32 v25, v30, v29, vcc
	v_add_u32_e32 v23, v25, v23
	v_add_u32_e32 v25, -1, v23
	v_cvt_f32_u32_e32 v25, v25
	v_cvt_f32_u32_e32 v27, v27
	v_add_f32_e32 v24, 1.0, v21
	v_fma_f32 v25, v25, s10, 0
	v_fma_f32 v27, v27, s10, 0
	v_mul_f32_e32 v25, v25, v25
	v_fmac_f32_e32 v25, v27, v27
	v_mul_f32_e32 v26, 0x4f800000, v25
	v_cmp_gt_f32_e32 vcc, s11, v25
	v_cndmask_b32_e32 v25, v25, v26, vcc
	v_sqrt_f32_e32 v26, v25
	v_add_u32_e32 v27, -1, v26
	v_add_u32_e32 v28, 1, v26
	v_fma_f32 v29, -v27, v26, v25
	v_fma_f32 v30, -v28, v26, v25
	v_cmp_ge_f32_e64 s[0:1], 0, v29
	v_cndmask_b32_e64 v26, v26, v27, s[0:1]
	v_cmp_lt_f32_e64 s[0:1], 0, v30
	v_cndmask_b32_e64 v26, v26, v28, s[0:1]
	v_mul_f32_e32 v27, 0x37800000, v26
	v_cndmask_b32_e32 v26, v26, v27, vcc
	v_cmp_class_f32_e32 vcc, v25, v22
	v_cndmask_b32_e32 v25, v26, v25, vcc
	v_cmp_nge_f32_e32 vcc, 1.0, v25
	v_cndmask_b32_e32 v21, v24, v21, vcc
	s_cbranch_scc1 .LBB31_44
; %bb.45:
	v_add_u32_e32 v22, 0x80157116, v5
	v_lshrrev_b32_e32 v23, 19, v22
	v_xor_b32_e32 v22, v22, v23
	v_xor_b32_e32 v22, 0xc761c23c, v22
	v_lshl_add_u32 v22, v22, 5, v22
	v_mov_b32_e32 v24, 0xaccf6200
	v_add_u32_e32 v23, 0xe9f8cc1d, v22
	v_lshl_add_u32 v22, v22, 9, v24
	v_xor_b32_e32 v22, v23, v22
	v_lshlrev_b32_e32 v23, 3, v22
	s_mov_b32 s0, 0xfd7046c5
	v_add3_u32 v22, v22, v23, s0
	v_xor_b32_sdwa v22, v22, v22 dst_sel:DWORD dst_unused:UNUSED_PAD src0_sel:DWORD src1_sel:WORD_1
	v_xor_b32_e32 v23, 0xb55a4f09, v22
	v_mul_hi_u32 v22, v23, 3
	s_brev_b32 s0, -2
	s_movk_i32 s3, 0x2710
	s_mov_b32 s8, 0xbc8f1391
	v_sub_u32_e32 v24, v23, v22
	v_lshrrev_b32_e32 v24, 1, v24
	v_add_u32_e32 v22, v24, v22
	v_lshrrev_b32_e32 v22, 30, v22
	v_mul_lo_u32 v24, v22, s0
	v_mov_b32_e32 v22, 0
	s_mov_b32 s9, 0xbc8f
	s_brev_b32 s10, 12
	v_sub_u32_e32 v23, v23, v24
	v_max_u32_e32 v24, 1, v23
	s_mov_b32 s11, 0xf800000
	v_mov_b32_e32 v23, 0x260
.LBB31_46:                              ; =>This Inner Loop Header: Depth=1
	v_mul_hi_u32 v25, v24, s8
	v_add_f32_e32 v26, 1.0, v22
	s_add_i32 s3, s3, -2
	s_cmp_lg_u32 s3, 0
	v_lshrrev_b32_e32 v25, 15, v25
	v_mul_u32_u24_e32 v27, 0xadc8, v25
	v_sub_u32_e32 v24, v24, v27
	v_mul_lo_u32 v24, v24, s9
	v_mul_u32_u24_e32 v25, 0xd47, v25
	v_xor_b32_e32 v27, 0x7fffffff, v25
	v_sub_u32_e32 v28, 0, v25
	v_cmp_lt_u32_e32 vcc, v24, v25
	v_cndmask_b32_e32 v25, v28, v27, vcc
	v_add_u32_e32 v24, v25, v24
	v_mul_hi_u32 v27, v24, s8
	v_add_u32_e32 v25, -1, v24
	v_cvt_f32_u32_e32 v25, v25
	v_lshrrev_b32_e32 v27, 15, v27
	v_mul_u32_u24_e32 v28, 0xadc8, v27
	v_sub_u32_e32 v24, v24, v28
	v_mul_lo_u32 v24, v24, s9
	v_mul_u32_u24_e32 v27, 0xd47, v27
	v_xor_b32_e32 v28, 0x7fffffff, v27
	v_sub_u32_e32 v29, 0, v27
	v_cmp_lt_u32_e32 vcc, v24, v27
	v_cndmask_b32_e32 v27, v29, v28, vcc
	v_add_u32_e32 v24, v27, v24
	v_mul_hi_u32 v28, v24, s8
	v_add_u32_e32 v27, -1, v24
	v_cvt_f32_u32_e32 v27, v27
	v_fma_f32 v25, v25, s10, 0
	v_lshrrev_b32_e32 v28, 15, v28
	v_mul_u32_u24_e32 v29, 0xadc8, v28
	v_fma_f32 v27, v27, s10, 0
	v_sub_u32_e32 v24, v24, v29
	v_mul_f32_e32 v27, v27, v27
	v_mul_lo_u32 v24, v24, s9
	v_fmac_f32_e32 v27, v25, v25
	v_mul_f32_e32 v25, 0x4f800000, v27
	v_cmp_gt_f32_e32 vcc, s11, v27
	v_mul_u32_u24_e32 v28, 0xd47, v28
	v_cndmask_b32_e32 v25, v27, v25, vcc
	v_xor_b32_e32 v29, 0x7fffffff, v28
	v_sub_u32_e32 v30, 0, v28
	v_sqrt_f32_e32 v27, v25
	v_cmp_lt_u32_e64 s[0:1], v24, v28
	v_cndmask_b32_e64 v28, v30, v29, s[0:1]
	v_add_u32_e32 v24, v28, v24
	v_mul_hi_u32 v29, v24, s8
	v_add_u32_e32 v30, -1, v27
	v_add_u32_e32 v31, 1, v27
	v_fma_f32 v32, -v30, v27, v25
	v_fma_f32 v33, -v31, v27, v25
	v_cmp_ge_f32_e64 s[0:1], 0, v32
	v_cndmask_b32_e64 v27, v27, v30, s[0:1]
	v_cmp_lt_f32_e64 s[0:1], 0, v33
	v_lshrrev_b32_e32 v29, 15, v29
	v_cndmask_b32_e64 v27, v27, v31, s[0:1]
	v_mul_u32_u24_e32 v31, 0xadc8, v29
	v_add_u32_e32 v28, -1, v24
	v_sub_u32_e32 v24, v24, v31
	v_mul_f32_e32 v30, 0x37800000, v27
	v_mul_lo_u32 v24, v24, s9
	v_cndmask_b32_e32 v27, v27, v30, vcc
	v_cmp_class_f32_e32 vcc, v25, v23
	v_cndmask_b32_e32 v25, v27, v25, vcc
	v_mul_u32_u24_e32 v29, 0xd47, v29
	v_cmp_nge_f32_e32 vcc, 1.0, v25
	v_xor_b32_e32 v30, 0x7fffffff, v29
	v_sub_u32_e32 v31, 0, v29
	v_cndmask_b32_e32 v22, v26, v22, vcc
	v_cmp_lt_u32_e32 vcc, v24, v29
	v_cndmask_b32_e32 v26, v31, v30, vcc
	v_add_u32_e32 v24, v26, v24
	v_add_u32_e32 v26, -1, v24
	v_cvt_f32_u32_e32 v26, v26
	v_cvt_f32_u32_e32 v28, v28
	v_add_f32_e32 v25, 1.0, v22
	v_fma_f32 v26, v26, s10, 0
	v_fma_f32 v28, v28, s10, 0
	v_mul_f32_e32 v26, v26, v26
	v_fmac_f32_e32 v26, v28, v28
	v_mul_f32_e32 v27, 0x4f800000, v26
	v_cmp_gt_f32_e32 vcc, s11, v26
	v_cndmask_b32_e32 v26, v26, v27, vcc
	v_sqrt_f32_e32 v27, v26
	v_add_u32_e32 v28, -1, v27
	v_add_u32_e32 v29, 1, v27
	v_fma_f32 v30, -v28, v27, v26
	v_fma_f32 v31, -v29, v27, v26
	v_cmp_ge_f32_e64 s[0:1], 0, v30
	v_cndmask_b32_e64 v27, v27, v28, s[0:1]
	v_cmp_lt_f32_e64 s[0:1], 0, v31
	v_cndmask_b32_e64 v27, v27, v29, s[0:1]
	v_mul_f32_e32 v28, 0x37800000, v27
	v_cndmask_b32_e32 v27, v27, v28, vcc
	v_cmp_class_f32_e32 vcc, v26, v23
	v_cndmask_b32_e32 v26, v27, v26, vcc
	v_cmp_nge_f32_e32 vcc, 1.0, v26
	v_cndmask_b32_e32 v22, v25, v22, vcc
	s_cbranch_scc1 .LBB31_46
; %bb.47:
	v_add_u32_e32 v23, 0x80257216, v5
	v_lshrrev_b32_e32 v24, 19, v23
	v_xor_b32_e32 v23, v23, v24
	v_xor_b32_e32 v23, 0xc761c23c, v23
	v_lshl_add_u32 v23, v23, 5, v23
	v_mov_b32_e32 v25, 0xaccf6200
	v_add_u32_e32 v24, 0xe9f8cc1d, v23
	v_lshl_add_u32 v23, v23, 9, v25
	v_xor_b32_e32 v23, v24, v23
	v_lshlrev_b32_e32 v24, 3, v23
	s_mov_b32 s0, 0xfd7046c5
	v_add3_u32 v23, v23, v24, s0
	v_xor_b32_sdwa v23, v23, v23 dst_sel:DWORD dst_unused:UNUSED_PAD src0_sel:DWORD src1_sel:WORD_1
	v_xor_b32_e32 v24, 0xb55a4f09, v23
	v_mul_hi_u32 v23, v24, 3
	s_brev_b32 s0, -2
	s_movk_i32 s3, 0x2710
	s_mov_b32 s8, 0xbc8f1391
	v_sub_u32_e32 v25, v24, v23
	v_lshrrev_b32_e32 v25, 1, v25
	v_add_u32_e32 v23, v25, v23
	v_lshrrev_b32_e32 v23, 30, v23
	v_mul_lo_u32 v25, v23, s0
	v_mov_b32_e32 v23, 0
	s_mov_b32 s9, 0xbc8f
	s_brev_b32 s10, 12
	v_sub_u32_e32 v24, v24, v25
	v_max_u32_e32 v25, 1, v24
	s_mov_b32 s11, 0xf800000
	v_mov_b32_e32 v24, 0x260
.LBB31_48:                              ; =>This Inner Loop Header: Depth=1
	v_mul_hi_u32 v26, v25, s8
	v_add_f32_e32 v27, 1.0, v23
	s_add_i32 s3, s3, -2
	s_cmp_lg_u32 s3, 0
	v_lshrrev_b32_e32 v26, 15, v26
	v_mul_u32_u24_e32 v28, 0xadc8, v26
	v_sub_u32_e32 v25, v25, v28
	v_mul_lo_u32 v25, v25, s9
	v_mul_u32_u24_e32 v26, 0xd47, v26
	v_xor_b32_e32 v28, 0x7fffffff, v26
	v_sub_u32_e32 v29, 0, v26
	v_cmp_lt_u32_e32 vcc, v25, v26
	v_cndmask_b32_e32 v26, v29, v28, vcc
	v_add_u32_e32 v25, v26, v25
	v_mul_hi_u32 v28, v25, s8
	v_add_u32_e32 v26, -1, v25
	v_cvt_f32_u32_e32 v26, v26
	v_lshrrev_b32_e32 v28, 15, v28
	v_mul_u32_u24_e32 v29, 0xadc8, v28
	v_sub_u32_e32 v25, v25, v29
	v_mul_lo_u32 v25, v25, s9
	v_mul_u32_u24_e32 v28, 0xd47, v28
	v_xor_b32_e32 v29, 0x7fffffff, v28
	v_sub_u32_e32 v30, 0, v28
	v_cmp_lt_u32_e32 vcc, v25, v28
	v_cndmask_b32_e32 v28, v30, v29, vcc
	v_add_u32_e32 v25, v28, v25
	v_mul_hi_u32 v29, v25, s8
	v_add_u32_e32 v28, -1, v25
	v_cvt_f32_u32_e32 v28, v28
	v_fma_f32 v26, v26, s10, 0
	v_lshrrev_b32_e32 v29, 15, v29
	v_mul_u32_u24_e32 v30, 0xadc8, v29
	v_fma_f32 v28, v28, s10, 0
	v_sub_u32_e32 v25, v25, v30
	v_mul_f32_e32 v28, v28, v28
	v_mul_lo_u32 v25, v25, s9
	v_fmac_f32_e32 v28, v26, v26
	v_mul_f32_e32 v26, 0x4f800000, v28
	v_cmp_gt_f32_e32 vcc, s11, v28
	v_mul_u32_u24_e32 v29, 0xd47, v29
	v_cndmask_b32_e32 v26, v28, v26, vcc
	v_xor_b32_e32 v30, 0x7fffffff, v29
	v_sub_u32_e32 v31, 0, v29
	v_sqrt_f32_e32 v28, v26
	v_cmp_lt_u32_e64 s[0:1], v25, v29
	v_cndmask_b32_e64 v29, v31, v30, s[0:1]
	v_add_u32_e32 v25, v29, v25
	v_mul_hi_u32 v30, v25, s8
	v_add_u32_e32 v31, -1, v28
	v_add_u32_e32 v32, 1, v28
	v_fma_f32 v33, -v31, v28, v26
	v_fma_f32 v34, -v32, v28, v26
	v_cmp_ge_f32_e64 s[0:1], 0, v33
	v_cndmask_b32_e64 v28, v28, v31, s[0:1]
	v_cmp_lt_f32_e64 s[0:1], 0, v34
	v_lshrrev_b32_e32 v30, 15, v30
	v_cndmask_b32_e64 v28, v28, v32, s[0:1]
	v_mul_u32_u24_e32 v32, 0xadc8, v30
	v_add_u32_e32 v29, -1, v25
	v_sub_u32_e32 v25, v25, v32
	v_mul_f32_e32 v31, 0x37800000, v28
	v_mul_lo_u32 v25, v25, s9
	v_cndmask_b32_e32 v28, v28, v31, vcc
	v_cmp_class_f32_e32 vcc, v26, v24
	v_cndmask_b32_e32 v26, v28, v26, vcc
	v_mul_u32_u24_e32 v30, 0xd47, v30
	v_cmp_nge_f32_e32 vcc, 1.0, v26
	v_xor_b32_e32 v31, 0x7fffffff, v30
	v_sub_u32_e32 v32, 0, v30
	v_cndmask_b32_e32 v23, v27, v23, vcc
	v_cmp_lt_u32_e32 vcc, v25, v30
	v_cndmask_b32_e32 v27, v32, v31, vcc
	v_add_u32_e32 v25, v27, v25
	v_add_u32_e32 v27, -1, v25
	v_cvt_f32_u32_e32 v27, v27
	v_cvt_f32_u32_e32 v29, v29
	v_add_f32_e32 v26, 1.0, v23
	v_fma_f32 v27, v27, s10, 0
	v_fma_f32 v29, v29, s10, 0
	v_mul_f32_e32 v27, v27, v27
	v_fmac_f32_e32 v27, v29, v29
	v_mul_f32_e32 v28, 0x4f800000, v27
	v_cmp_gt_f32_e32 vcc, s11, v27
	v_cndmask_b32_e32 v27, v27, v28, vcc
	v_sqrt_f32_e32 v28, v27
	v_add_u32_e32 v29, -1, v28
	v_add_u32_e32 v30, 1, v28
	v_fma_f32 v31, -v29, v28, v27
	v_fma_f32 v32, -v30, v28, v27
	v_cmp_ge_f32_e64 s[0:1], 0, v31
	v_cndmask_b32_e64 v28, v28, v29, s[0:1]
	v_cmp_lt_f32_e64 s[0:1], 0, v32
	v_cndmask_b32_e64 v28, v28, v30, s[0:1]
	v_mul_f32_e32 v29, 0x37800000, v28
	v_cndmask_b32_e32 v28, v28, v29, vcc
	v_cmp_class_f32_e32 vcc, v27, v24
	v_cndmask_b32_e32 v27, v28, v27, vcc
	v_cmp_nge_f32_e32 vcc, 1.0, v27
	v_cndmask_b32_e32 v23, v26, v23, vcc
	s_cbranch_scc1 .LBB31_48
; %bb.49:
	v_add_u32_e32 v24, 0x80357316, v5
	v_lshrrev_b32_e32 v25, 19, v24
	v_xor_b32_e32 v24, v24, v25
	v_xor_b32_e32 v24, 0xc761c23c, v24
	v_lshl_add_u32 v24, v24, 5, v24
	v_mov_b32_e32 v26, 0xaccf6200
	v_add_u32_e32 v25, 0xe9f8cc1d, v24
	v_lshl_add_u32 v24, v24, 9, v26
	v_xor_b32_e32 v24, v25, v24
	v_lshlrev_b32_e32 v25, 3, v24
	s_mov_b32 s0, 0xfd7046c5
	v_add3_u32 v24, v24, v25, s0
	v_xor_b32_sdwa v24, v24, v24 dst_sel:DWORD dst_unused:UNUSED_PAD src0_sel:DWORD src1_sel:WORD_1
	v_xor_b32_e32 v25, 0xb55a4f09, v24
	v_mul_hi_u32 v24, v25, 3
	s_brev_b32 s0, -2
	s_movk_i32 s3, 0x2710
	s_mov_b32 s8, 0xbc8f1391
	v_sub_u32_e32 v26, v25, v24
	v_lshrrev_b32_e32 v26, 1, v26
	v_add_u32_e32 v24, v26, v24
	v_lshrrev_b32_e32 v24, 30, v24
	v_mul_lo_u32 v26, v24, s0
	v_mov_b32_e32 v24, 0
	s_mov_b32 s9, 0xbc8f
	s_brev_b32 s10, 12
	v_sub_u32_e32 v25, v25, v26
	v_max_u32_e32 v26, 1, v25
	s_mov_b32 s11, 0xf800000
	v_mov_b32_e32 v25, 0x260
.LBB31_50:                              ; =>This Inner Loop Header: Depth=1
	v_mul_hi_u32 v27, v26, s8
	v_add_f32_e32 v28, 1.0, v24
	s_add_i32 s3, s3, -2
	s_cmp_lg_u32 s3, 0
	v_lshrrev_b32_e32 v27, 15, v27
	v_mul_u32_u24_e32 v29, 0xadc8, v27
	v_sub_u32_e32 v26, v26, v29
	v_mul_lo_u32 v26, v26, s9
	v_mul_u32_u24_e32 v27, 0xd47, v27
	v_xor_b32_e32 v29, 0x7fffffff, v27
	v_sub_u32_e32 v30, 0, v27
	v_cmp_lt_u32_e32 vcc, v26, v27
	v_cndmask_b32_e32 v27, v30, v29, vcc
	v_add_u32_e32 v26, v27, v26
	v_mul_hi_u32 v29, v26, s8
	v_add_u32_e32 v27, -1, v26
	v_cvt_f32_u32_e32 v27, v27
	v_lshrrev_b32_e32 v29, 15, v29
	v_mul_u32_u24_e32 v30, 0xadc8, v29
	v_sub_u32_e32 v26, v26, v30
	v_mul_lo_u32 v26, v26, s9
	v_mul_u32_u24_e32 v29, 0xd47, v29
	v_xor_b32_e32 v30, 0x7fffffff, v29
	v_sub_u32_e32 v31, 0, v29
	v_cmp_lt_u32_e32 vcc, v26, v29
	v_cndmask_b32_e32 v29, v31, v30, vcc
	v_add_u32_e32 v26, v29, v26
	v_mul_hi_u32 v30, v26, s8
	v_add_u32_e32 v29, -1, v26
	v_cvt_f32_u32_e32 v29, v29
	v_fma_f32 v27, v27, s10, 0
	v_lshrrev_b32_e32 v30, 15, v30
	v_mul_u32_u24_e32 v31, 0xadc8, v30
	v_fma_f32 v29, v29, s10, 0
	v_sub_u32_e32 v26, v26, v31
	v_mul_f32_e32 v29, v29, v29
	v_mul_lo_u32 v26, v26, s9
	v_fmac_f32_e32 v29, v27, v27
	v_mul_f32_e32 v27, 0x4f800000, v29
	v_cmp_gt_f32_e32 vcc, s11, v29
	v_mul_u32_u24_e32 v30, 0xd47, v30
	v_cndmask_b32_e32 v27, v29, v27, vcc
	v_xor_b32_e32 v31, 0x7fffffff, v30
	v_sub_u32_e32 v32, 0, v30
	v_sqrt_f32_e32 v29, v27
	v_cmp_lt_u32_e64 s[0:1], v26, v30
	v_cndmask_b32_e64 v30, v32, v31, s[0:1]
	v_add_u32_e32 v26, v30, v26
	v_mul_hi_u32 v31, v26, s8
	v_add_u32_e32 v32, -1, v29
	v_add_u32_e32 v33, 1, v29
	v_fma_f32 v34, -v32, v29, v27
	v_fma_f32 v35, -v33, v29, v27
	v_cmp_ge_f32_e64 s[0:1], 0, v34
	v_cndmask_b32_e64 v29, v29, v32, s[0:1]
	v_cmp_lt_f32_e64 s[0:1], 0, v35
	v_lshrrev_b32_e32 v31, 15, v31
	v_cndmask_b32_e64 v29, v29, v33, s[0:1]
	v_mul_u32_u24_e32 v33, 0xadc8, v31
	v_add_u32_e32 v30, -1, v26
	v_sub_u32_e32 v26, v26, v33
	v_mul_f32_e32 v32, 0x37800000, v29
	v_mul_lo_u32 v26, v26, s9
	v_cndmask_b32_e32 v29, v29, v32, vcc
	v_cmp_class_f32_e32 vcc, v27, v25
	v_cndmask_b32_e32 v27, v29, v27, vcc
	v_mul_u32_u24_e32 v31, 0xd47, v31
	v_cmp_nge_f32_e32 vcc, 1.0, v27
	v_xor_b32_e32 v32, 0x7fffffff, v31
	v_sub_u32_e32 v33, 0, v31
	v_cndmask_b32_e32 v24, v28, v24, vcc
	v_cmp_lt_u32_e32 vcc, v26, v31
	v_cndmask_b32_e32 v28, v33, v32, vcc
	v_add_u32_e32 v26, v28, v26
	v_add_u32_e32 v28, -1, v26
	v_cvt_f32_u32_e32 v28, v28
	v_cvt_f32_u32_e32 v30, v30
	v_add_f32_e32 v27, 1.0, v24
	v_fma_f32 v28, v28, s10, 0
	v_fma_f32 v30, v30, s10, 0
	v_mul_f32_e32 v28, v28, v28
	v_fmac_f32_e32 v28, v30, v30
	v_mul_f32_e32 v29, 0x4f800000, v28
	v_cmp_gt_f32_e32 vcc, s11, v28
	v_cndmask_b32_e32 v28, v28, v29, vcc
	v_sqrt_f32_e32 v29, v28
	v_add_u32_e32 v30, -1, v29
	v_add_u32_e32 v31, 1, v29
	v_fma_f32 v32, -v30, v29, v28
	v_fma_f32 v33, -v31, v29, v28
	v_cmp_ge_f32_e64 s[0:1], 0, v32
	v_cndmask_b32_e64 v29, v29, v30, s[0:1]
	v_cmp_lt_f32_e64 s[0:1], 0, v33
	v_cndmask_b32_e64 v29, v29, v31, s[0:1]
	v_mul_f32_e32 v30, 0x37800000, v29
	v_cndmask_b32_e32 v29, v29, v30, vcc
	v_cmp_class_f32_e32 vcc, v28, v25
	v_cndmask_b32_e32 v28, v29, v28, vcc
	v_cmp_nge_f32_e32 vcc, 1.0, v28
	v_cndmask_b32_e32 v24, v27, v24, vcc
	s_cbranch_scc1 .LBB31_50
; %bb.51:
	v_add_u32_e32 v25, 0x80457416, v5
	v_lshrrev_b32_e32 v26, 19, v25
	v_xor_b32_e32 v25, v25, v26
	v_xor_b32_e32 v25, 0xc761c23c, v25
	v_lshl_add_u32 v25, v25, 5, v25
	v_mov_b32_e32 v27, 0xaccf6200
	v_add_u32_e32 v26, 0xe9f8cc1d, v25
	v_lshl_add_u32 v25, v25, 9, v27
	v_xor_b32_e32 v25, v26, v25
	v_lshlrev_b32_e32 v26, 3, v25
	s_mov_b32 s0, 0xfd7046c5
	v_add3_u32 v25, v25, v26, s0
	v_xor_b32_sdwa v25, v25, v25 dst_sel:DWORD dst_unused:UNUSED_PAD src0_sel:DWORD src1_sel:WORD_1
	v_xor_b32_e32 v26, 0xb55a4f09, v25
	v_mul_hi_u32 v25, v26, 3
	s_brev_b32 s0, -2
	s_movk_i32 s3, 0x2710
	s_mov_b32 s8, 0xbc8f1391
	v_sub_u32_e32 v27, v26, v25
	v_lshrrev_b32_e32 v27, 1, v27
	v_add_u32_e32 v25, v27, v25
	v_lshrrev_b32_e32 v25, 30, v25
	v_mul_lo_u32 v27, v25, s0
	v_mov_b32_e32 v25, 0
	s_mov_b32 s9, 0xbc8f
	s_brev_b32 s10, 12
	v_sub_u32_e32 v26, v26, v27
	v_max_u32_e32 v27, 1, v26
	s_mov_b32 s11, 0xf800000
	v_mov_b32_e32 v26, 0x260
.LBB31_52:                              ; =>This Inner Loop Header: Depth=1
	v_mul_hi_u32 v28, v27, s8
	v_add_f32_e32 v29, 1.0, v25
	s_add_i32 s3, s3, -2
	s_cmp_lg_u32 s3, 0
	v_lshrrev_b32_e32 v28, 15, v28
	v_mul_u32_u24_e32 v30, 0xadc8, v28
	v_sub_u32_e32 v27, v27, v30
	v_mul_lo_u32 v27, v27, s9
	v_mul_u32_u24_e32 v28, 0xd47, v28
	v_xor_b32_e32 v30, 0x7fffffff, v28
	v_sub_u32_e32 v31, 0, v28
	v_cmp_lt_u32_e32 vcc, v27, v28
	v_cndmask_b32_e32 v28, v31, v30, vcc
	v_add_u32_e32 v27, v28, v27
	v_mul_hi_u32 v30, v27, s8
	v_add_u32_e32 v28, -1, v27
	v_cvt_f32_u32_e32 v28, v28
	v_lshrrev_b32_e32 v30, 15, v30
	v_mul_u32_u24_e32 v31, 0xadc8, v30
	v_sub_u32_e32 v27, v27, v31
	v_mul_lo_u32 v27, v27, s9
	v_mul_u32_u24_e32 v30, 0xd47, v30
	v_xor_b32_e32 v31, 0x7fffffff, v30
	v_sub_u32_e32 v32, 0, v30
	v_cmp_lt_u32_e32 vcc, v27, v30
	v_cndmask_b32_e32 v30, v32, v31, vcc
	v_add_u32_e32 v27, v30, v27
	v_mul_hi_u32 v31, v27, s8
	v_add_u32_e32 v30, -1, v27
	v_cvt_f32_u32_e32 v30, v30
	v_fma_f32 v28, v28, s10, 0
	v_lshrrev_b32_e32 v31, 15, v31
	v_mul_u32_u24_e32 v32, 0xadc8, v31
	v_fma_f32 v30, v30, s10, 0
	v_sub_u32_e32 v27, v27, v32
	v_mul_f32_e32 v30, v30, v30
	v_mul_lo_u32 v27, v27, s9
	v_fmac_f32_e32 v30, v28, v28
	v_mul_f32_e32 v28, 0x4f800000, v30
	v_cmp_gt_f32_e32 vcc, s11, v30
	v_mul_u32_u24_e32 v31, 0xd47, v31
	v_cndmask_b32_e32 v28, v30, v28, vcc
	v_xor_b32_e32 v32, 0x7fffffff, v31
	v_sub_u32_e32 v33, 0, v31
	v_sqrt_f32_e32 v30, v28
	v_cmp_lt_u32_e64 s[0:1], v27, v31
	v_cndmask_b32_e64 v31, v33, v32, s[0:1]
	v_add_u32_e32 v27, v31, v27
	v_mul_hi_u32 v32, v27, s8
	v_add_u32_e32 v33, -1, v30
	v_add_u32_e32 v34, 1, v30
	v_fma_f32 v35, -v33, v30, v28
	v_fma_f32 v36, -v34, v30, v28
	v_cmp_ge_f32_e64 s[0:1], 0, v35
	v_cndmask_b32_e64 v30, v30, v33, s[0:1]
	v_cmp_lt_f32_e64 s[0:1], 0, v36
	v_lshrrev_b32_e32 v32, 15, v32
	v_cndmask_b32_e64 v30, v30, v34, s[0:1]
	v_mul_u32_u24_e32 v34, 0xadc8, v32
	v_add_u32_e32 v31, -1, v27
	v_sub_u32_e32 v27, v27, v34
	v_mul_f32_e32 v33, 0x37800000, v30
	v_mul_lo_u32 v27, v27, s9
	v_cndmask_b32_e32 v30, v30, v33, vcc
	v_cmp_class_f32_e32 vcc, v28, v26
	v_cndmask_b32_e32 v28, v30, v28, vcc
	v_mul_u32_u24_e32 v32, 0xd47, v32
	v_cmp_nge_f32_e32 vcc, 1.0, v28
	v_xor_b32_e32 v33, 0x7fffffff, v32
	v_sub_u32_e32 v34, 0, v32
	v_cndmask_b32_e32 v25, v29, v25, vcc
	v_cmp_lt_u32_e32 vcc, v27, v32
	v_cndmask_b32_e32 v29, v34, v33, vcc
	v_add_u32_e32 v27, v29, v27
	v_add_u32_e32 v29, -1, v27
	v_cvt_f32_u32_e32 v29, v29
	v_cvt_f32_u32_e32 v31, v31
	v_add_f32_e32 v28, 1.0, v25
	v_fma_f32 v29, v29, s10, 0
	v_fma_f32 v31, v31, s10, 0
	v_mul_f32_e32 v29, v29, v29
	v_fmac_f32_e32 v29, v31, v31
	v_mul_f32_e32 v30, 0x4f800000, v29
	v_cmp_gt_f32_e32 vcc, s11, v29
	v_cndmask_b32_e32 v29, v29, v30, vcc
	v_sqrt_f32_e32 v30, v29
	v_add_u32_e32 v31, -1, v30
	v_add_u32_e32 v32, 1, v30
	v_fma_f32 v33, -v31, v30, v29
	v_fma_f32 v34, -v32, v30, v29
	v_cmp_ge_f32_e64 s[0:1], 0, v33
	v_cndmask_b32_e64 v30, v30, v31, s[0:1]
	v_cmp_lt_f32_e64 s[0:1], 0, v34
	v_cndmask_b32_e64 v30, v30, v32, s[0:1]
	v_mul_f32_e32 v31, 0x37800000, v30
	v_cndmask_b32_e32 v30, v30, v31, vcc
	v_cmp_class_f32_e32 vcc, v29, v26
	v_cndmask_b32_e32 v29, v30, v29, vcc
	v_cmp_nge_f32_e32 vcc, 1.0, v29
	v_cndmask_b32_e32 v25, v28, v25, vcc
	s_cbranch_scc1 .LBB31_52
; %bb.53:
	v_add_u32_e32 v26, 0x80557516, v5
	v_lshrrev_b32_e32 v27, 19, v26
	v_xor_b32_e32 v26, v26, v27
	v_xor_b32_e32 v26, 0xc761c23c, v26
	v_lshl_add_u32 v26, v26, 5, v26
	v_mov_b32_e32 v28, 0xaccf6200
	v_add_u32_e32 v27, 0xe9f8cc1d, v26
	v_lshl_add_u32 v26, v26, 9, v28
	v_xor_b32_e32 v26, v27, v26
	v_lshlrev_b32_e32 v27, 3, v26
	s_mov_b32 s0, 0xfd7046c5
	v_add3_u32 v26, v26, v27, s0
	v_xor_b32_sdwa v26, v26, v26 dst_sel:DWORD dst_unused:UNUSED_PAD src0_sel:DWORD src1_sel:WORD_1
	v_xor_b32_e32 v27, 0xb55a4f09, v26
	v_mul_hi_u32 v26, v27, 3
	s_brev_b32 s0, -2
	s_movk_i32 s3, 0x2710
	s_mov_b32 s8, 0xbc8f1391
	v_sub_u32_e32 v28, v27, v26
	v_lshrrev_b32_e32 v28, 1, v28
	v_add_u32_e32 v26, v28, v26
	v_lshrrev_b32_e32 v26, 30, v26
	v_mul_lo_u32 v28, v26, s0
	v_mov_b32_e32 v26, 0
	s_mov_b32 s9, 0xbc8f
	s_brev_b32 s10, 12
	v_sub_u32_e32 v27, v27, v28
	v_max_u32_e32 v28, 1, v27
	s_mov_b32 s11, 0xf800000
	v_mov_b32_e32 v27, 0x260
.LBB31_54:                              ; =>This Inner Loop Header: Depth=1
	v_mul_hi_u32 v29, v28, s8
	v_add_f32_e32 v30, 1.0, v26
	s_add_i32 s3, s3, -2
	s_cmp_lg_u32 s3, 0
	v_lshrrev_b32_e32 v29, 15, v29
	v_mul_u32_u24_e32 v31, 0xadc8, v29
	v_sub_u32_e32 v28, v28, v31
	v_mul_lo_u32 v28, v28, s9
	v_mul_u32_u24_e32 v29, 0xd47, v29
	v_xor_b32_e32 v31, 0x7fffffff, v29
	v_sub_u32_e32 v32, 0, v29
	v_cmp_lt_u32_e32 vcc, v28, v29
	v_cndmask_b32_e32 v29, v32, v31, vcc
	v_add_u32_e32 v28, v29, v28
	v_mul_hi_u32 v31, v28, s8
	v_add_u32_e32 v29, -1, v28
	v_cvt_f32_u32_e32 v29, v29
	v_lshrrev_b32_e32 v31, 15, v31
	v_mul_u32_u24_e32 v32, 0xadc8, v31
	v_sub_u32_e32 v28, v28, v32
	v_mul_lo_u32 v28, v28, s9
	v_mul_u32_u24_e32 v31, 0xd47, v31
	v_xor_b32_e32 v32, 0x7fffffff, v31
	v_sub_u32_e32 v33, 0, v31
	v_cmp_lt_u32_e32 vcc, v28, v31
	v_cndmask_b32_e32 v31, v33, v32, vcc
	v_add_u32_e32 v28, v31, v28
	v_mul_hi_u32 v32, v28, s8
	v_add_u32_e32 v31, -1, v28
	v_cvt_f32_u32_e32 v31, v31
	v_fma_f32 v29, v29, s10, 0
	v_lshrrev_b32_e32 v32, 15, v32
	v_mul_u32_u24_e32 v33, 0xadc8, v32
	v_fma_f32 v31, v31, s10, 0
	v_sub_u32_e32 v28, v28, v33
	v_mul_f32_e32 v31, v31, v31
	v_mul_lo_u32 v28, v28, s9
	v_fmac_f32_e32 v31, v29, v29
	v_mul_f32_e32 v29, 0x4f800000, v31
	v_cmp_gt_f32_e32 vcc, s11, v31
	v_mul_u32_u24_e32 v32, 0xd47, v32
	v_cndmask_b32_e32 v29, v31, v29, vcc
	v_xor_b32_e32 v33, 0x7fffffff, v32
	v_sub_u32_e32 v34, 0, v32
	v_sqrt_f32_e32 v31, v29
	v_cmp_lt_u32_e64 s[0:1], v28, v32
	v_cndmask_b32_e64 v32, v34, v33, s[0:1]
	v_add_u32_e32 v28, v32, v28
	v_mul_hi_u32 v33, v28, s8
	v_add_u32_e32 v34, -1, v31
	v_add_u32_e32 v35, 1, v31
	v_fma_f32 v36, -v34, v31, v29
	v_fma_f32 v37, -v35, v31, v29
	v_cmp_ge_f32_e64 s[0:1], 0, v36
	v_cndmask_b32_e64 v31, v31, v34, s[0:1]
	v_cmp_lt_f32_e64 s[0:1], 0, v37
	v_lshrrev_b32_e32 v33, 15, v33
	v_cndmask_b32_e64 v31, v31, v35, s[0:1]
	v_mul_u32_u24_e32 v35, 0xadc8, v33
	v_add_u32_e32 v32, -1, v28
	v_sub_u32_e32 v28, v28, v35
	v_mul_f32_e32 v34, 0x37800000, v31
	v_mul_lo_u32 v28, v28, s9
	v_cndmask_b32_e32 v31, v31, v34, vcc
	v_cmp_class_f32_e32 vcc, v29, v27
	v_cndmask_b32_e32 v29, v31, v29, vcc
	v_mul_u32_u24_e32 v33, 0xd47, v33
	v_cmp_nge_f32_e32 vcc, 1.0, v29
	v_xor_b32_e32 v34, 0x7fffffff, v33
	v_sub_u32_e32 v35, 0, v33
	v_cndmask_b32_e32 v26, v30, v26, vcc
	v_cmp_lt_u32_e32 vcc, v28, v33
	v_cndmask_b32_e32 v30, v35, v34, vcc
	v_add_u32_e32 v28, v30, v28
	v_add_u32_e32 v30, -1, v28
	v_cvt_f32_u32_e32 v30, v30
	v_cvt_f32_u32_e32 v32, v32
	v_add_f32_e32 v29, 1.0, v26
	v_fma_f32 v30, v30, s10, 0
	v_fma_f32 v32, v32, s10, 0
	v_mul_f32_e32 v30, v30, v30
	v_fmac_f32_e32 v30, v32, v32
	v_mul_f32_e32 v31, 0x4f800000, v30
	v_cmp_gt_f32_e32 vcc, s11, v30
	v_cndmask_b32_e32 v30, v30, v31, vcc
	v_sqrt_f32_e32 v31, v30
	v_add_u32_e32 v32, -1, v31
	v_add_u32_e32 v33, 1, v31
	v_fma_f32 v34, -v32, v31, v30
	v_fma_f32 v35, -v33, v31, v30
	v_cmp_ge_f32_e64 s[0:1], 0, v34
	v_cndmask_b32_e64 v31, v31, v32, s[0:1]
	v_cmp_lt_f32_e64 s[0:1], 0, v35
	v_cndmask_b32_e64 v31, v31, v33, s[0:1]
	v_mul_f32_e32 v32, 0x37800000, v31
	v_cndmask_b32_e32 v31, v31, v32, vcc
	v_cmp_class_f32_e32 vcc, v30, v27
	v_cndmask_b32_e32 v30, v31, v30, vcc
	v_cmp_nge_f32_e32 vcc, 1.0, v30
	v_cndmask_b32_e32 v26, v29, v26, vcc
	s_cbranch_scc1 .LBB31_54
; %bb.55:
	v_add_u32_e32 v27, 0x80657616, v5
	v_lshrrev_b32_e32 v28, 19, v27
	v_xor_b32_e32 v27, v27, v28
	v_xor_b32_e32 v27, 0xc761c23c, v27
	v_lshl_add_u32 v27, v27, 5, v27
	v_mov_b32_e32 v29, 0xaccf6200
	v_add_u32_e32 v28, 0xe9f8cc1d, v27
	v_lshl_add_u32 v27, v27, 9, v29
	v_xor_b32_e32 v27, v28, v27
	v_lshlrev_b32_e32 v28, 3, v27
	s_mov_b32 s0, 0xfd7046c5
	v_add3_u32 v27, v27, v28, s0
	v_xor_b32_sdwa v27, v27, v27 dst_sel:DWORD dst_unused:UNUSED_PAD src0_sel:DWORD src1_sel:WORD_1
	v_xor_b32_e32 v28, 0xb55a4f09, v27
	v_mul_hi_u32 v27, v28, 3
	s_brev_b32 s0, -2
	s_movk_i32 s3, 0x2710
	s_mov_b32 s8, 0xbc8f1391
	v_sub_u32_e32 v29, v28, v27
	v_lshrrev_b32_e32 v29, 1, v29
	v_add_u32_e32 v27, v29, v27
	v_lshrrev_b32_e32 v27, 30, v27
	v_mul_lo_u32 v29, v27, s0
	v_mov_b32_e32 v27, 0
	s_mov_b32 s9, 0xbc8f
	s_brev_b32 s10, 12
	v_sub_u32_e32 v28, v28, v29
	v_max_u32_e32 v29, 1, v28
	s_mov_b32 s11, 0xf800000
	v_mov_b32_e32 v28, 0x260
.LBB31_56:                              ; =>This Inner Loop Header: Depth=1
	v_mul_hi_u32 v30, v29, s8
	v_add_f32_e32 v31, 1.0, v27
	s_add_i32 s3, s3, -2
	s_cmp_lg_u32 s3, 0
	v_lshrrev_b32_e32 v30, 15, v30
	v_mul_u32_u24_e32 v32, 0xadc8, v30
	v_sub_u32_e32 v29, v29, v32
	v_mul_lo_u32 v29, v29, s9
	v_mul_u32_u24_e32 v30, 0xd47, v30
	v_xor_b32_e32 v32, 0x7fffffff, v30
	v_sub_u32_e32 v33, 0, v30
	v_cmp_lt_u32_e32 vcc, v29, v30
	v_cndmask_b32_e32 v30, v33, v32, vcc
	v_add_u32_e32 v29, v30, v29
	v_mul_hi_u32 v32, v29, s8
	v_add_u32_e32 v30, -1, v29
	v_cvt_f32_u32_e32 v30, v30
	v_lshrrev_b32_e32 v32, 15, v32
	v_mul_u32_u24_e32 v33, 0xadc8, v32
	v_sub_u32_e32 v29, v29, v33
	v_mul_lo_u32 v29, v29, s9
	v_mul_u32_u24_e32 v32, 0xd47, v32
	v_xor_b32_e32 v33, 0x7fffffff, v32
	v_sub_u32_e32 v34, 0, v32
	v_cmp_lt_u32_e32 vcc, v29, v32
	v_cndmask_b32_e32 v32, v34, v33, vcc
	v_add_u32_e32 v29, v32, v29
	v_mul_hi_u32 v33, v29, s8
	v_add_u32_e32 v32, -1, v29
	v_cvt_f32_u32_e32 v32, v32
	v_fma_f32 v30, v30, s10, 0
	v_lshrrev_b32_e32 v33, 15, v33
	v_mul_u32_u24_e32 v34, 0xadc8, v33
	v_fma_f32 v32, v32, s10, 0
	v_sub_u32_e32 v29, v29, v34
	v_mul_f32_e32 v32, v32, v32
	v_mul_lo_u32 v29, v29, s9
	v_fmac_f32_e32 v32, v30, v30
	v_mul_f32_e32 v30, 0x4f800000, v32
	v_cmp_gt_f32_e32 vcc, s11, v32
	v_mul_u32_u24_e32 v33, 0xd47, v33
	v_cndmask_b32_e32 v30, v32, v30, vcc
	v_xor_b32_e32 v34, 0x7fffffff, v33
	v_sub_u32_e32 v35, 0, v33
	v_sqrt_f32_e32 v32, v30
	v_cmp_lt_u32_e64 s[0:1], v29, v33
	v_cndmask_b32_e64 v33, v35, v34, s[0:1]
	v_add_u32_e32 v29, v33, v29
	v_mul_hi_u32 v34, v29, s8
	v_add_u32_e32 v35, -1, v32
	v_add_u32_e32 v36, 1, v32
	v_fma_f32 v37, -v35, v32, v30
	v_fma_f32 v38, -v36, v32, v30
	v_cmp_ge_f32_e64 s[0:1], 0, v37
	v_cndmask_b32_e64 v32, v32, v35, s[0:1]
	v_cmp_lt_f32_e64 s[0:1], 0, v38
	v_lshrrev_b32_e32 v34, 15, v34
	v_cndmask_b32_e64 v32, v32, v36, s[0:1]
	v_mul_u32_u24_e32 v36, 0xadc8, v34
	v_add_u32_e32 v33, -1, v29
	v_sub_u32_e32 v29, v29, v36
	v_mul_f32_e32 v35, 0x37800000, v32
	v_mul_lo_u32 v29, v29, s9
	v_cndmask_b32_e32 v32, v32, v35, vcc
	v_cmp_class_f32_e32 vcc, v30, v28
	v_cndmask_b32_e32 v30, v32, v30, vcc
	v_mul_u32_u24_e32 v34, 0xd47, v34
	v_cmp_nge_f32_e32 vcc, 1.0, v30
	v_xor_b32_e32 v35, 0x7fffffff, v34
	v_sub_u32_e32 v36, 0, v34
	v_cndmask_b32_e32 v27, v31, v27, vcc
	v_cmp_lt_u32_e32 vcc, v29, v34
	v_cndmask_b32_e32 v31, v36, v35, vcc
	v_add_u32_e32 v29, v31, v29
	v_add_u32_e32 v31, -1, v29
	v_cvt_f32_u32_e32 v31, v31
	v_cvt_f32_u32_e32 v33, v33
	v_add_f32_e32 v30, 1.0, v27
	v_fma_f32 v31, v31, s10, 0
	v_fma_f32 v33, v33, s10, 0
	v_mul_f32_e32 v31, v31, v31
	v_fmac_f32_e32 v31, v33, v33
	v_mul_f32_e32 v32, 0x4f800000, v31
	v_cmp_gt_f32_e32 vcc, s11, v31
	v_cndmask_b32_e32 v31, v31, v32, vcc
	v_sqrt_f32_e32 v32, v31
	v_add_u32_e32 v33, -1, v32
	v_add_u32_e32 v34, 1, v32
	v_fma_f32 v35, -v33, v32, v31
	v_fma_f32 v36, -v34, v32, v31
	v_cmp_ge_f32_e64 s[0:1], 0, v35
	v_cndmask_b32_e64 v32, v32, v33, s[0:1]
	v_cmp_lt_f32_e64 s[0:1], 0, v36
	v_cndmask_b32_e64 v32, v32, v34, s[0:1]
	v_mul_f32_e32 v33, 0x37800000, v32
	v_cndmask_b32_e32 v32, v32, v33, vcc
	v_cmp_class_f32_e32 vcc, v31, v28
	v_cndmask_b32_e32 v31, v32, v31, vcc
	v_cmp_nge_f32_e32 vcc, 1.0, v31
	v_cndmask_b32_e32 v27, v30, v27, vcc
	s_cbranch_scc1 .LBB31_56
; %bb.57:
	v_add_u32_e32 v28, 0x80757716, v5
	v_lshrrev_b32_e32 v29, 19, v28
	v_xor_b32_e32 v28, v28, v29
	v_xor_b32_e32 v28, 0xc761c23c, v28
	v_lshl_add_u32 v28, v28, 5, v28
	v_mov_b32_e32 v30, 0xaccf6200
	v_add_u32_e32 v29, 0xe9f8cc1d, v28
	v_lshl_add_u32 v28, v28, 9, v30
	v_xor_b32_e32 v28, v29, v28
	v_lshlrev_b32_e32 v29, 3, v28
	s_mov_b32 s0, 0xfd7046c5
	v_add3_u32 v28, v28, v29, s0
	v_xor_b32_sdwa v28, v28, v28 dst_sel:DWORD dst_unused:UNUSED_PAD src0_sel:DWORD src1_sel:WORD_1
	v_xor_b32_e32 v28, 0xb55a4f09, v28
	v_mul_hi_u32 v29, v28, 3
	s_brev_b32 s0, -2
	s_movk_i32 s3, 0x2710
	s_mov_b32 s8, 0xbc8f1391
	v_sub_u32_e32 v30, v28, v29
	v_lshrrev_b32_e32 v30, 1, v30
	v_add_u32_e32 v29, v30, v29
	v_lshrrev_b32_e32 v29, 30, v29
	v_mul_lo_u32 v30, v29, s0
	v_mov_b32_e32 v29, 0
	s_mov_b32 s9, 0xbc8f
	s_brev_b32 s10, 12
	v_sub_u32_e32 v28, v28, v30
	v_max_u32_e32 v30, 1, v28
	s_mov_b32 s11, 0xf800000
	v_mov_b32_e32 v28, 0x260
.LBB31_58:                              ; =>This Inner Loop Header: Depth=1
	v_mul_hi_u32 v31, v30, s8
	v_add_f32_e32 v32, 1.0, v29
	s_add_i32 s3, s3, -2
	s_cmp_lg_u32 s3, 0
	v_lshrrev_b32_e32 v31, 15, v31
	v_mul_u32_u24_e32 v33, 0xadc8, v31
	v_sub_u32_e32 v30, v30, v33
	v_mul_lo_u32 v30, v30, s9
	v_mul_u32_u24_e32 v31, 0xd47, v31
	v_xor_b32_e32 v33, 0x7fffffff, v31
	v_sub_u32_e32 v34, 0, v31
	v_cmp_lt_u32_e32 vcc, v30, v31
	v_cndmask_b32_e32 v31, v34, v33, vcc
	v_add_u32_e32 v30, v31, v30
	v_mul_hi_u32 v33, v30, s8
	v_add_u32_e32 v31, -1, v30
	v_cvt_f32_u32_e32 v31, v31
	v_lshrrev_b32_e32 v33, 15, v33
	v_mul_u32_u24_e32 v34, 0xadc8, v33
	v_sub_u32_e32 v30, v30, v34
	v_mul_lo_u32 v30, v30, s9
	v_mul_u32_u24_e32 v33, 0xd47, v33
	v_xor_b32_e32 v34, 0x7fffffff, v33
	v_sub_u32_e32 v35, 0, v33
	v_cmp_lt_u32_e32 vcc, v30, v33
	v_cndmask_b32_e32 v33, v35, v34, vcc
	v_add_u32_e32 v30, v33, v30
	v_mul_hi_u32 v34, v30, s8
	v_add_u32_e32 v33, -1, v30
	v_cvt_f32_u32_e32 v33, v33
	v_fma_f32 v31, v31, s10, 0
	v_lshrrev_b32_e32 v34, 15, v34
	v_mul_u32_u24_e32 v35, 0xadc8, v34
	v_fma_f32 v33, v33, s10, 0
	v_sub_u32_e32 v30, v30, v35
	v_mul_f32_e32 v33, v33, v33
	v_mul_lo_u32 v30, v30, s9
	v_fmac_f32_e32 v33, v31, v31
	v_mul_f32_e32 v31, 0x4f800000, v33
	v_cmp_gt_f32_e32 vcc, s11, v33
	v_mul_u32_u24_e32 v34, 0xd47, v34
	v_cndmask_b32_e32 v31, v33, v31, vcc
	v_xor_b32_e32 v35, 0x7fffffff, v34
	v_sub_u32_e32 v36, 0, v34
	v_sqrt_f32_e32 v33, v31
	v_cmp_lt_u32_e64 s[0:1], v30, v34
	v_cndmask_b32_e64 v34, v36, v35, s[0:1]
	v_add_u32_e32 v30, v34, v30
	v_mul_hi_u32 v35, v30, s8
	v_add_u32_e32 v36, -1, v33
	v_add_u32_e32 v37, 1, v33
	v_fma_f32 v38, -v36, v33, v31
	v_fma_f32 v39, -v37, v33, v31
	v_cmp_ge_f32_e64 s[0:1], 0, v38
	v_cndmask_b32_e64 v33, v33, v36, s[0:1]
	v_cmp_lt_f32_e64 s[0:1], 0, v39
	v_lshrrev_b32_e32 v35, 15, v35
	v_cndmask_b32_e64 v33, v33, v37, s[0:1]
	v_mul_u32_u24_e32 v37, 0xadc8, v35
	v_add_u32_e32 v34, -1, v30
	v_sub_u32_e32 v30, v30, v37
	v_mul_f32_e32 v36, 0x37800000, v33
	v_mul_lo_u32 v30, v30, s9
	v_cndmask_b32_e32 v33, v33, v36, vcc
	v_cmp_class_f32_e32 vcc, v31, v28
	v_cndmask_b32_e32 v31, v33, v31, vcc
	v_mul_u32_u24_e32 v35, 0xd47, v35
	v_cmp_nge_f32_e32 vcc, 1.0, v31
	v_xor_b32_e32 v36, 0x7fffffff, v35
	v_sub_u32_e32 v37, 0, v35
	v_cndmask_b32_e32 v29, v32, v29, vcc
	v_cmp_lt_u32_e32 vcc, v30, v35
	v_cndmask_b32_e32 v32, v37, v36, vcc
	v_add_u32_e32 v30, v32, v30
	v_add_u32_e32 v32, -1, v30
	v_cvt_f32_u32_e32 v32, v32
	v_cvt_f32_u32_e32 v34, v34
	v_add_f32_e32 v31, 1.0, v29
	v_fma_f32 v32, v32, s10, 0
	v_fma_f32 v34, v34, s10, 0
	v_mul_f32_e32 v32, v32, v32
	v_fmac_f32_e32 v32, v34, v34
	v_mul_f32_e32 v33, 0x4f800000, v32
	v_cmp_gt_f32_e32 vcc, s11, v32
	v_cndmask_b32_e32 v32, v32, v33, vcc
	v_sqrt_f32_e32 v33, v32
	v_add_u32_e32 v34, -1, v33
	v_add_u32_e32 v35, 1, v33
	v_fma_f32 v36, -v34, v33, v32
	v_fma_f32 v37, -v35, v33, v32
	v_cmp_ge_f32_e64 s[0:1], 0, v36
	v_cndmask_b32_e64 v33, v33, v34, s[0:1]
	v_cmp_lt_f32_e64 s[0:1], 0, v37
	v_cndmask_b32_e64 v33, v33, v35, s[0:1]
	v_mul_f32_e32 v34, 0x37800000, v33
	v_cndmask_b32_e32 v33, v33, v34, vcc
	v_cmp_class_f32_e32 vcc, v32, v28
	v_cndmask_b32_e32 v32, v33, v32, vcc
	v_cmp_nge_f32_e32 vcc, 1.0, v32
	v_cndmask_b32_e32 v29, v31, v29, vcc
	s_cbranch_scc1 .LBB31_58
; %bb.59:
	v_add_u32_e32 v28, 0x80857816, v5
	v_lshrrev_b32_e32 v30, 19, v28
	v_xor_b32_e32 v28, v28, v30
	v_xor_b32_e32 v28, 0xc761c23c, v28
	v_lshl_add_u32 v28, v28, 5, v28
	v_mov_b32_e32 v31, 0xaccf6200
	v_add_u32_e32 v30, 0xe9f8cc1d, v28
	v_lshl_add_u32 v28, v28, 9, v31
	v_xor_b32_e32 v28, v30, v28
	v_lshlrev_b32_e32 v30, 3, v28
	s_mov_b32 s0, 0xfd7046c5
	v_add3_u32 v28, v28, v30, s0
	v_xor_b32_sdwa v28, v28, v28 dst_sel:DWORD dst_unused:UNUSED_PAD src0_sel:DWORD src1_sel:WORD_1
	v_xor_b32_e32 v30, 0xb55a4f09, v28
	v_mul_hi_u32 v28, v30, 3
	s_brev_b32 s0, -2
	s_movk_i32 s3, 0x2710
	s_mov_b32 s8, 0xbc8f1391
	v_sub_u32_e32 v31, v30, v28
	v_lshrrev_b32_e32 v31, 1, v31
	v_add_u32_e32 v28, v31, v28
	v_lshrrev_b32_e32 v28, 30, v28
	v_mul_lo_u32 v31, v28, s0
	v_mov_b32_e32 v28, 0
	s_mov_b32 s9, 0xbc8f
	s_brev_b32 s10, 12
	v_sub_u32_e32 v30, v30, v31
	v_max_u32_e32 v31, 1, v30
	s_mov_b32 s11, 0xf800000
	v_mov_b32_e32 v30, 0x260
.LBB31_60:                              ; =>This Inner Loop Header: Depth=1
	v_mul_hi_u32 v32, v31, s8
	s_add_i32 s3, s3, -2
	s_cmp_lg_u32 s3, 0
	v_lshrrev_b32_e32 v32, 15, v32
	v_mul_u32_u24_e32 v33, 0xadc8, v32
	v_sub_u32_e32 v31, v31, v33
	v_mul_lo_u32 v31, v31, s9
	v_mul_u32_u24_e32 v32, 0xd47, v32
	v_xor_b32_e32 v33, 0x7fffffff, v32
	v_cmp_lt_u32_e32 vcc, v31, v32
	v_sub_u32_e32 v32, 0, v32
	v_cndmask_b32_e32 v32, v32, v33, vcc
	v_add_u32_e32 v31, v32, v31
	v_mul_hi_u32 v33, v31, s8
	v_add_u32_e32 v32, -1, v31
	v_cvt_f32_u32_e32 v32, v32
	v_lshrrev_b32_e32 v33, 15, v33
	v_mul_u32_u24_e32 v34, 0xadc8, v33
	v_sub_u32_e32 v31, v31, v34
	v_mul_lo_u32 v31, v31, s9
	v_mul_u32_u24_e32 v33, 0xd47, v33
	v_xor_b32_e32 v34, 0x7fffffff, v33
	v_fma_f32 v32, v32, s10, 0
	v_cmp_lt_u32_e32 vcc, v31, v33
	v_sub_u32_e32 v33, 0, v33
	v_cndmask_b32_e32 v33, v33, v34, vcc
	v_add_u32_e32 v31, v33, v31
	v_add_u32_e32 v33, -1, v31
	v_cvt_f32_u32_e32 v33, v33
	v_fma_f32 v33, v33, s10, 0
	v_mul_f32_e32 v33, v33, v33
	v_fmac_f32_e32 v33, v32, v32
	v_cmp_gt_f32_e32 vcc, s11, v33
	v_mul_f32_e32 v32, 0x4f800000, v33
	v_cndmask_b32_e32 v32, v33, v32, vcc
	v_sqrt_f32_e32 v33, v32
	v_add_u32_e32 v34, -1, v33
	v_fma_f32 v35, -v34, v33, v32
	v_cmp_ge_f32_e64 s[0:1], 0, v35
	v_add_u32_e32 v35, 1, v33
	v_cndmask_b32_e64 v34, v33, v34, s[0:1]
	v_fma_f32 v33, -v35, v33, v32
	v_cmp_lt_f32_e64 s[0:1], 0, v33
	v_cndmask_b32_e64 v33, v34, v35, s[0:1]
	v_mul_f32_e32 v34, 0x37800000, v33
	v_cndmask_b32_e32 v33, v33, v34, vcc
	v_cmp_class_f32_e32 vcc, v32, v30
	v_cndmask_b32_e32 v32, v33, v32, vcc
	v_cmp_nge_f32_e32 vcc, 1.0, v32
	v_add_f32_e32 v32, 1.0, v28
	v_cndmask_b32_e32 v28, v32, v28, vcc
	v_mul_hi_u32 v32, v31, s8
	v_lshrrev_b32_e32 v32, 15, v32
	v_mul_u32_u24_e32 v33, 0xadc8, v32
	v_sub_u32_e32 v31, v31, v33
	v_mul_lo_u32 v31, v31, s9
	v_mul_u32_u24_e32 v32, 0xd47, v32
	v_xor_b32_e32 v33, 0x7fffffff, v32
	v_cmp_lt_u32_e32 vcc, v31, v32
	v_sub_u32_e32 v32, 0, v32
	v_cndmask_b32_e32 v32, v32, v33, vcc
	v_add_u32_e32 v31, v32, v31
	v_mul_hi_u32 v33, v31, s8
	v_add_u32_e32 v32, -1, v31
	v_cvt_f32_u32_e32 v32, v32
	v_lshrrev_b32_e32 v33, 15, v33
	v_mul_u32_u24_e32 v34, 0xadc8, v33
	v_sub_u32_e32 v31, v31, v34
	v_mul_lo_u32 v31, v31, s9
	v_mul_u32_u24_e32 v33, 0xd47, v33
	v_xor_b32_e32 v34, 0x7fffffff, v33
	v_fma_f32 v32, v32, s10, 0
	v_cmp_lt_u32_e32 vcc, v31, v33
	v_sub_u32_e32 v33, 0, v33
	v_cndmask_b32_e32 v33, v33, v34, vcc
	v_add_u32_e32 v31, v33, v31
	v_add_u32_e32 v33, -1, v31
	v_cvt_f32_u32_e32 v33, v33
	v_fma_f32 v33, v33, s10, 0
	v_mul_f32_e32 v33, v33, v33
	v_fmac_f32_e32 v33, v32, v32
	v_cmp_gt_f32_e32 vcc, s11, v33
	v_mul_f32_e32 v32, 0x4f800000, v33
	v_cndmask_b32_e32 v32, v33, v32, vcc
	v_sqrt_f32_e32 v33, v32
	v_add_u32_e32 v34, -1, v33
	v_fma_f32 v35, -v34, v33, v32
	v_cmp_ge_f32_e64 s[0:1], 0, v35
	v_add_u32_e32 v35, 1, v33
	v_cndmask_b32_e64 v34, v33, v34, s[0:1]
	v_fma_f32 v33, -v35, v33, v32
	v_cmp_lt_f32_e64 s[0:1], 0, v33
	v_cndmask_b32_e64 v33, v34, v35, s[0:1]
	v_mul_f32_e32 v34, 0x37800000, v33
	v_cndmask_b32_e32 v33, v33, v34, vcc
	v_cmp_class_f32_e32 vcc, v32, v30
	v_cndmask_b32_e32 v32, v33, v32, vcc
	v_cmp_nge_f32_e32 vcc, 1.0, v32
	v_add_f32_e32 v32, 1.0, v28
	v_cndmask_b32_e32 v28, v32, v28, vcc
	s_cbranch_scc1 .LBB31_60
; %bb.61:
	v_add_u32_e32 v30, 0x80957916, v5
	v_lshrrev_b32_e32 v31, 19, v30
	v_xor_b32_e32 v30, v30, v31
	v_xor_b32_e32 v30, 0xc761c23c, v30
	v_lshl_add_u32 v30, v30, 5, v30
	v_mov_b32_e32 v32, 0xaccf6200
	v_add_u32_e32 v31, 0xe9f8cc1d, v30
	v_lshl_add_u32 v30, v30, 9, v32
	v_xor_b32_e32 v30, v31, v30
	v_lshlrev_b32_e32 v31, 3, v30
	s_mov_b32 s0, 0xfd7046c5
	v_add3_u32 v30, v30, v31, s0
	v_xor_b32_sdwa v30, v30, v30 dst_sel:DWORD dst_unused:UNUSED_PAD src0_sel:DWORD src1_sel:WORD_1
	v_xor_b32_e32 v31, 0xb55a4f09, v30
	v_mul_hi_u32 v30, v31, 3
	s_brev_b32 s0, -2
	s_movk_i32 s3, 0x2710
	s_mov_b32 s8, 0xbc8f1391
	v_sub_u32_e32 v32, v31, v30
	v_lshrrev_b32_e32 v32, 1, v32
	v_add_u32_e32 v30, v32, v30
	v_lshrrev_b32_e32 v30, 30, v30
	v_mul_lo_u32 v32, v30, s0
	v_mov_b32_e32 v30, 0
	s_mov_b32 s9, 0xbc8f
	s_brev_b32 s10, 12
	v_sub_u32_e32 v31, v31, v32
	v_max_u32_e32 v32, 1, v31
	s_mov_b32 s11, 0xf800000
	v_mov_b32_e32 v31, 0x260
.LBB31_62:                              ; =>This Inner Loop Header: Depth=1
	v_mul_hi_u32 v33, v32, s8
	s_add_i32 s3, s3, -2
	s_cmp_lg_u32 s3, 0
	v_lshrrev_b32_e32 v33, 15, v33
	v_mul_u32_u24_e32 v34, 0xadc8, v33
	v_sub_u32_e32 v32, v32, v34
	v_mul_lo_u32 v32, v32, s9
	v_mul_u32_u24_e32 v33, 0xd47, v33
	v_xor_b32_e32 v34, 0x7fffffff, v33
	v_cmp_lt_u32_e32 vcc, v32, v33
	v_sub_u32_e32 v33, 0, v33
	v_cndmask_b32_e32 v33, v33, v34, vcc
	v_add_u32_e32 v32, v33, v32
	v_mul_hi_u32 v34, v32, s8
	v_add_u32_e32 v33, -1, v32
	v_cvt_f32_u32_e32 v33, v33
	v_lshrrev_b32_e32 v34, 15, v34
	v_mul_u32_u24_e32 v35, 0xadc8, v34
	v_sub_u32_e32 v32, v32, v35
	v_mul_lo_u32 v32, v32, s9
	v_mul_u32_u24_e32 v34, 0xd47, v34
	v_xor_b32_e32 v35, 0x7fffffff, v34
	v_fma_f32 v33, v33, s10, 0
	v_cmp_lt_u32_e32 vcc, v32, v34
	v_sub_u32_e32 v34, 0, v34
	v_cndmask_b32_e32 v34, v34, v35, vcc
	v_add_u32_e32 v32, v34, v32
	v_add_u32_e32 v34, -1, v32
	v_cvt_f32_u32_e32 v34, v34
	v_fma_f32 v34, v34, s10, 0
	v_mul_f32_e32 v34, v34, v34
	v_fmac_f32_e32 v34, v33, v33
	v_cmp_gt_f32_e32 vcc, s11, v34
	v_mul_f32_e32 v33, 0x4f800000, v34
	v_cndmask_b32_e32 v33, v34, v33, vcc
	v_sqrt_f32_e32 v34, v33
	v_add_u32_e32 v35, -1, v34
	v_fma_f32 v36, -v35, v34, v33
	v_cmp_ge_f32_e64 s[0:1], 0, v36
	v_add_u32_e32 v36, 1, v34
	v_cndmask_b32_e64 v35, v34, v35, s[0:1]
	v_fma_f32 v34, -v36, v34, v33
	v_cmp_lt_f32_e64 s[0:1], 0, v34
	v_cndmask_b32_e64 v34, v35, v36, s[0:1]
	v_mul_f32_e32 v35, 0x37800000, v34
	v_cndmask_b32_e32 v34, v34, v35, vcc
	v_cmp_class_f32_e32 vcc, v33, v31
	v_cndmask_b32_e32 v33, v34, v33, vcc
	v_cmp_nge_f32_e32 vcc, 1.0, v33
	v_add_f32_e32 v33, 1.0, v30
	v_cndmask_b32_e32 v30, v33, v30, vcc
	v_mul_hi_u32 v33, v32, s8
	v_lshrrev_b32_e32 v33, 15, v33
	v_mul_u32_u24_e32 v34, 0xadc8, v33
	v_sub_u32_e32 v32, v32, v34
	v_mul_lo_u32 v32, v32, s9
	v_mul_u32_u24_e32 v33, 0xd47, v33
	v_xor_b32_e32 v34, 0x7fffffff, v33
	v_cmp_lt_u32_e32 vcc, v32, v33
	v_sub_u32_e32 v33, 0, v33
	v_cndmask_b32_e32 v33, v33, v34, vcc
	v_add_u32_e32 v32, v33, v32
	v_mul_hi_u32 v34, v32, s8
	v_add_u32_e32 v33, -1, v32
	v_cvt_f32_u32_e32 v33, v33
	v_lshrrev_b32_e32 v34, 15, v34
	v_mul_u32_u24_e32 v35, 0xadc8, v34
	v_sub_u32_e32 v32, v32, v35
	v_mul_lo_u32 v32, v32, s9
	v_mul_u32_u24_e32 v34, 0xd47, v34
	v_xor_b32_e32 v35, 0x7fffffff, v34
	v_fma_f32 v33, v33, s10, 0
	v_cmp_lt_u32_e32 vcc, v32, v34
	v_sub_u32_e32 v34, 0, v34
	v_cndmask_b32_e32 v34, v34, v35, vcc
	v_add_u32_e32 v32, v34, v32
	v_add_u32_e32 v34, -1, v32
	v_cvt_f32_u32_e32 v34, v34
	v_fma_f32 v34, v34, s10, 0
	v_mul_f32_e32 v34, v34, v34
	v_fmac_f32_e32 v34, v33, v33
	v_cmp_gt_f32_e32 vcc, s11, v34
	v_mul_f32_e32 v33, 0x4f800000, v34
	v_cndmask_b32_e32 v33, v34, v33, vcc
	v_sqrt_f32_e32 v34, v33
	v_add_u32_e32 v35, -1, v34
	v_fma_f32 v36, -v35, v34, v33
	v_cmp_ge_f32_e64 s[0:1], 0, v36
	v_add_u32_e32 v36, 1, v34
	v_cndmask_b32_e64 v35, v34, v35, s[0:1]
	v_fma_f32 v34, -v36, v34, v33
	v_cmp_lt_f32_e64 s[0:1], 0, v34
	v_cndmask_b32_e64 v34, v35, v36, s[0:1]
	v_mul_f32_e32 v35, 0x37800000, v34
	v_cndmask_b32_e32 v34, v34, v35, vcc
	v_cmp_class_f32_e32 vcc, v33, v31
	v_cndmask_b32_e32 v33, v34, v33, vcc
	v_cmp_nge_f32_e32 vcc, 1.0, v33
	v_add_f32_e32 v33, 1.0, v30
	v_cndmask_b32_e32 v30, v33, v30, vcc
	s_cbranch_scc1 .LBB31_62
; %bb.63:
	v_add_u32_e32 v31, 0x80a57a16, v5
	v_lshrrev_b32_e32 v32, 19, v31
	v_xor_b32_e32 v31, v31, v32
	v_xor_b32_e32 v31, 0xc761c23c, v31
	v_lshl_add_u32 v31, v31, 5, v31
	v_mov_b32_e32 v33, 0xaccf6200
	v_add_u32_e32 v32, 0xe9f8cc1d, v31
	v_lshl_add_u32 v31, v31, 9, v33
	v_xor_b32_e32 v31, v32, v31
	v_lshlrev_b32_e32 v32, 3, v31
	s_mov_b32 s0, 0xfd7046c5
	v_add3_u32 v31, v31, v32, s0
	v_xor_b32_sdwa v31, v31, v31 dst_sel:DWORD dst_unused:UNUSED_PAD src0_sel:DWORD src1_sel:WORD_1
	v_xor_b32_e32 v32, 0xb55a4f09, v31
	v_mul_hi_u32 v31, v32, 3
	s_brev_b32 s0, -2
	s_movk_i32 s3, 0x2710
	s_mov_b32 s8, 0xbc8f1391
	v_sub_u32_e32 v33, v32, v31
	v_lshrrev_b32_e32 v33, 1, v33
	v_add_u32_e32 v31, v33, v31
	v_lshrrev_b32_e32 v31, 30, v31
	v_mul_lo_u32 v33, v31, s0
	v_mov_b32_e32 v31, 0
	s_mov_b32 s9, 0xbc8f
	s_brev_b32 s10, 12
	v_sub_u32_e32 v32, v32, v33
	v_max_u32_e32 v33, 1, v32
	s_mov_b32 s11, 0xf800000
	v_mov_b32_e32 v32, 0x260
.LBB31_64:                              ; =>This Inner Loop Header: Depth=1
	v_mul_hi_u32 v34, v33, s8
	s_add_i32 s3, s3, -2
	s_cmp_lg_u32 s3, 0
	v_lshrrev_b32_e32 v34, 15, v34
	v_mul_u32_u24_e32 v35, 0xadc8, v34
	v_sub_u32_e32 v33, v33, v35
	v_mul_lo_u32 v33, v33, s9
	v_mul_u32_u24_e32 v34, 0xd47, v34
	v_xor_b32_e32 v35, 0x7fffffff, v34
	v_cmp_lt_u32_e32 vcc, v33, v34
	v_sub_u32_e32 v34, 0, v34
	v_cndmask_b32_e32 v34, v34, v35, vcc
	v_add_u32_e32 v33, v34, v33
	v_mul_hi_u32 v35, v33, s8
	v_add_u32_e32 v34, -1, v33
	v_cvt_f32_u32_e32 v34, v34
	v_lshrrev_b32_e32 v35, 15, v35
	v_mul_u32_u24_e32 v36, 0xadc8, v35
	v_sub_u32_e32 v33, v33, v36
	v_mul_lo_u32 v33, v33, s9
	v_mul_u32_u24_e32 v35, 0xd47, v35
	v_xor_b32_e32 v36, 0x7fffffff, v35
	v_fma_f32 v34, v34, s10, 0
	v_cmp_lt_u32_e32 vcc, v33, v35
	v_sub_u32_e32 v35, 0, v35
	v_cndmask_b32_e32 v35, v35, v36, vcc
	v_add_u32_e32 v33, v35, v33
	v_add_u32_e32 v35, -1, v33
	v_cvt_f32_u32_e32 v35, v35
	v_fma_f32 v35, v35, s10, 0
	v_mul_f32_e32 v35, v35, v35
	v_fmac_f32_e32 v35, v34, v34
	v_cmp_gt_f32_e32 vcc, s11, v35
	v_mul_f32_e32 v34, 0x4f800000, v35
	v_cndmask_b32_e32 v34, v35, v34, vcc
	v_sqrt_f32_e32 v35, v34
	v_add_u32_e32 v36, -1, v35
	v_fma_f32 v37, -v36, v35, v34
	v_cmp_ge_f32_e64 s[0:1], 0, v37
	v_add_u32_e32 v37, 1, v35
	v_cndmask_b32_e64 v36, v35, v36, s[0:1]
	v_fma_f32 v35, -v37, v35, v34
	v_cmp_lt_f32_e64 s[0:1], 0, v35
	v_cndmask_b32_e64 v35, v36, v37, s[0:1]
	v_mul_f32_e32 v36, 0x37800000, v35
	v_cndmask_b32_e32 v35, v35, v36, vcc
	v_cmp_class_f32_e32 vcc, v34, v32
	v_cndmask_b32_e32 v34, v35, v34, vcc
	v_cmp_nge_f32_e32 vcc, 1.0, v34
	v_add_f32_e32 v34, 1.0, v31
	v_cndmask_b32_e32 v31, v34, v31, vcc
	v_mul_hi_u32 v34, v33, s8
	v_lshrrev_b32_e32 v34, 15, v34
	v_mul_u32_u24_e32 v35, 0xadc8, v34
	v_sub_u32_e32 v33, v33, v35
	v_mul_lo_u32 v33, v33, s9
	v_mul_u32_u24_e32 v34, 0xd47, v34
	v_xor_b32_e32 v35, 0x7fffffff, v34
	v_cmp_lt_u32_e32 vcc, v33, v34
	v_sub_u32_e32 v34, 0, v34
	v_cndmask_b32_e32 v34, v34, v35, vcc
	v_add_u32_e32 v33, v34, v33
	v_mul_hi_u32 v35, v33, s8
	v_add_u32_e32 v34, -1, v33
	v_cvt_f32_u32_e32 v34, v34
	v_lshrrev_b32_e32 v35, 15, v35
	v_mul_u32_u24_e32 v36, 0xadc8, v35
	v_sub_u32_e32 v33, v33, v36
	v_mul_lo_u32 v33, v33, s9
	v_mul_u32_u24_e32 v35, 0xd47, v35
	v_xor_b32_e32 v36, 0x7fffffff, v35
	v_fma_f32 v34, v34, s10, 0
	v_cmp_lt_u32_e32 vcc, v33, v35
	v_sub_u32_e32 v35, 0, v35
	v_cndmask_b32_e32 v35, v35, v36, vcc
	v_add_u32_e32 v33, v35, v33
	v_add_u32_e32 v35, -1, v33
	v_cvt_f32_u32_e32 v35, v35
	v_fma_f32 v35, v35, s10, 0
	v_mul_f32_e32 v35, v35, v35
	v_fmac_f32_e32 v35, v34, v34
	v_cmp_gt_f32_e32 vcc, s11, v35
	v_mul_f32_e32 v34, 0x4f800000, v35
	v_cndmask_b32_e32 v34, v35, v34, vcc
	v_sqrt_f32_e32 v35, v34
	v_add_u32_e32 v36, -1, v35
	v_fma_f32 v37, -v36, v35, v34
	v_cmp_ge_f32_e64 s[0:1], 0, v37
	v_add_u32_e32 v37, 1, v35
	v_cndmask_b32_e64 v36, v35, v36, s[0:1]
	v_fma_f32 v35, -v37, v35, v34
	v_cmp_lt_f32_e64 s[0:1], 0, v35
	v_cndmask_b32_e64 v35, v36, v37, s[0:1]
	v_mul_f32_e32 v36, 0x37800000, v35
	v_cndmask_b32_e32 v35, v35, v36, vcc
	v_cmp_class_f32_e32 vcc, v34, v32
	v_cndmask_b32_e32 v34, v35, v34, vcc
	v_cmp_nge_f32_e32 vcc, 1.0, v34
	v_add_f32_e32 v34, 1.0, v31
	v_cndmask_b32_e32 v31, v34, v31, vcc
	s_cbranch_scc1 .LBB31_64
; %bb.65:
	v_add_u32_e32 v32, 0x80b57b16, v5
	v_lshrrev_b32_e32 v33, 19, v32
	v_xor_b32_e32 v32, v32, v33
	v_xor_b32_e32 v32, 0xc761c23c, v32
	v_lshl_add_u32 v32, v32, 5, v32
	v_mov_b32_e32 v34, 0xaccf6200
	v_add_u32_e32 v33, 0xe9f8cc1d, v32
	v_lshl_add_u32 v32, v32, 9, v34
	v_xor_b32_e32 v32, v33, v32
	v_lshlrev_b32_e32 v33, 3, v32
	s_mov_b32 s0, 0xfd7046c5
	v_add3_u32 v32, v32, v33, s0
	v_xor_b32_sdwa v32, v32, v32 dst_sel:DWORD dst_unused:UNUSED_PAD src0_sel:DWORD src1_sel:WORD_1
	v_xor_b32_e32 v33, 0xb55a4f09, v32
	v_mul_hi_u32 v32, v33, 3
	s_brev_b32 s0, -2
	s_movk_i32 s3, 0x2710
	s_mov_b32 s8, 0xbc8f1391
	v_sub_u32_e32 v34, v33, v32
	v_lshrrev_b32_e32 v34, 1, v34
	v_add_u32_e32 v32, v34, v32
	v_lshrrev_b32_e32 v32, 30, v32
	v_mul_lo_u32 v34, v32, s0
	v_mov_b32_e32 v32, 0
	s_mov_b32 s9, 0xbc8f
	s_brev_b32 s10, 12
	v_sub_u32_e32 v33, v33, v34
	v_max_u32_e32 v34, 1, v33
	s_mov_b32 s11, 0xf800000
	v_mov_b32_e32 v33, 0x260
.LBB31_66:                              ; =>This Inner Loop Header: Depth=1
	v_mul_hi_u32 v35, v34, s8
	s_add_i32 s3, s3, -2
	s_cmp_lg_u32 s3, 0
	v_lshrrev_b32_e32 v35, 15, v35
	v_mul_u32_u24_e32 v36, 0xadc8, v35
	v_sub_u32_e32 v34, v34, v36
	v_mul_lo_u32 v34, v34, s9
	v_mul_u32_u24_e32 v35, 0xd47, v35
	v_xor_b32_e32 v36, 0x7fffffff, v35
	v_cmp_lt_u32_e32 vcc, v34, v35
	v_sub_u32_e32 v35, 0, v35
	v_cndmask_b32_e32 v35, v35, v36, vcc
	v_add_u32_e32 v34, v35, v34
	v_mul_hi_u32 v36, v34, s8
	v_add_u32_e32 v35, -1, v34
	v_cvt_f32_u32_e32 v35, v35
	v_lshrrev_b32_e32 v36, 15, v36
	v_mul_u32_u24_e32 v37, 0xadc8, v36
	v_sub_u32_e32 v34, v34, v37
	v_mul_lo_u32 v34, v34, s9
	v_mul_u32_u24_e32 v36, 0xd47, v36
	v_xor_b32_e32 v37, 0x7fffffff, v36
	v_fma_f32 v35, v35, s10, 0
	v_cmp_lt_u32_e32 vcc, v34, v36
	v_sub_u32_e32 v36, 0, v36
	v_cndmask_b32_e32 v36, v36, v37, vcc
	v_add_u32_e32 v34, v36, v34
	v_add_u32_e32 v36, -1, v34
	v_cvt_f32_u32_e32 v36, v36
	v_fma_f32 v36, v36, s10, 0
	v_mul_f32_e32 v36, v36, v36
	v_fmac_f32_e32 v36, v35, v35
	v_cmp_gt_f32_e32 vcc, s11, v36
	v_mul_f32_e32 v35, 0x4f800000, v36
	v_cndmask_b32_e32 v35, v36, v35, vcc
	v_sqrt_f32_e32 v36, v35
	v_add_u32_e32 v37, -1, v36
	v_fma_f32 v38, -v37, v36, v35
	v_cmp_ge_f32_e64 s[0:1], 0, v38
	v_add_u32_e32 v38, 1, v36
	v_cndmask_b32_e64 v37, v36, v37, s[0:1]
	v_fma_f32 v36, -v38, v36, v35
	v_cmp_lt_f32_e64 s[0:1], 0, v36
	v_cndmask_b32_e64 v36, v37, v38, s[0:1]
	v_mul_f32_e32 v37, 0x37800000, v36
	v_cndmask_b32_e32 v36, v36, v37, vcc
	v_cmp_class_f32_e32 vcc, v35, v33
	v_cndmask_b32_e32 v35, v36, v35, vcc
	v_cmp_nge_f32_e32 vcc, 1.0, v35
	v_add_f32_e32 v35, 1.0, v32
	v_cndmask_b32_e32 v32, v35, v32, vcc
	v_mul_hi_u32 v35, v34, s8
	v_lshrrev_b32_e32 v35, 15, v35
	v_mul_u32_u24_e32 v36, 0xadc8, v35
	v_sub_u32_e32 v34, v34, v36
	v_mul_lo_u32 v34, v34, s9
	v_mul_u32_u24_e32 v35, 0xd47, v35
	v_xor_b32_e32 v36, 0x7fffffff, v35
	v_cmp_lt_u32_e32 vcc, v34, v35
	v_sub_u32_e32 v35, 0, v35
	v_cndmask_b32_e32 v35, v35, v36, vcc
	v_add_u32_e32 v34, v35, v34
	v_mul_hi_u32 v36, v34, s8
	v_add_u32_e32 v35, -1, v34
	v_cvt_f32_u32_e32 v35, v35
	v_lshrrev_b32_e32 v36, 15, v36
	v_mul_u32_u24_e32 v37, 0xadc8, v36
	v_sub_u32_e32 v34, v34, v37
	v_mul_lo_u32 v34, v34, s9
	v_mul_u32_u24_e32 v36, 0xd47, v36
	v_xor_b32_e32 v37, 0x7fffffff, v36
	v_fma_f32 v35, v35, s10, 0
	v_cmp_lt_u32_e32 vcc, v34, v36
	v_sub_u32_e32 v36, 0, v36
	v_cndmask_b32_e32 v36, v36, v37, vcc
	v_add_u32_e32 v34, v36, v34
	v_add_u32_e32 v36, -1, v34
	v_cvt_f32_u32_e32 v36, v36
	v_fma_f32 v36, v36, s10, 0
	v_mul_f32_e32 v36, v36, v36
	v_fmac_f32_e32 v36, v35, v35
	v_cmp_gt_f32_e32 vcc, s11, v36
	v_mul_f32_e32 v35, 0x4f800000, v36
	v_cndmask_b32_e32 v35, v36, v35, vcc
	v_sqrt_f32_e32 v36, v35
	v_add_u32_e32 v37, -1, v36
	v_fma_f32 v38, -v37, v36, v35
	v_cmp_ge_f32_e64 s[0:1], 0, v38
	v_add_u32_e32 v38, 1, v36
	v_cndmask_b32_e64 v37, v36, v37, s[0:1]
	v_fma_f32 v36, -v38, v36, v35
	v_cmp_lt_f32_e64 s[0:1], 0, v36
	v_cndmask_b32_e64 v36, v37, v38, s[0:1]
	v_mul_f32_e32 v37, 0x37800000, v36
	v_cndmask_b32_e32 v36, v36, v37, vcc
	v_cmp_class_f32_e32 vcc, v35, v33
	v_cndmask_b32_e32 v35, v36, v35, vcc
	v_cmp_nge_f32_e32 vcc, 1.0, v35
	v_add_f32_e32 v35, 1.0, v32
	v_cndmask_b32_e32 v32, v35, v32, vcc
	s_cbranch_scc1 .LBB31_66
; %bb.67:
	v_add_u32_e32 v5, 0x80c57c16, v5
	v_lshrrev_b32_e32 v33, 19, v5
	v_xor_b32_e32 v5, v5, v33
	v_xor_b32_e32 v5, 0xc761c23c, v5
	v_lshl_add_u32 v5, v5, 5, v5
	v_mov_b32_e32 v34, 0xaccf6200
	v_add_u32_e32 v33, 0xe9f8cc1d, v5
	v_lshl_add_u32 v5, v5, 9, v34
	v_xor_b32_e32 v5, v33, v5
	v_lshlrev_b32_e32 v33, 3, v5
	s_mov_b32 s0, 0xfd7046c5
	v_add3_u32 v5, v5, v33, s0
	v_xor_b32_sdwa v5, v5, v5 dst_sel:DWORD dst_unused:UNUSED_PAD src0_sel:DWORD src1_sel:WORD_1
	v_xor_b32_e32 v33, 0xb55a4f09, v5
	v_mul_hi_u32 v5, v33, 3
	s_brev_b32 s0, -2
	s_movk_i32 s3, 0x2710
	s_mov_b32 s8, 0xbc8f1391
	v_sub_u32_e32 v34, v33, v5
	v_lshrrev_b32_e32 v34, 1, v34
	v_add_u32_e32 v5, v34, v5
	v_lshrrev_b32_e32 v5, 30, v5
	v_mul_lo_u32 v34, v5, s0
	v_mov_b32_e32 v5, 0
	s_mov_b32 s9, 0xbc8f
	s_brev_b32 s10, 12
	v_sub_u32_e32 v33, v33, v34
	v_max_u32_e32 v34, 1, v33
	s_mov_b32 s11, 0xf800000
	v_mov_b32_e32 v33, 0x260
.LBB31_68:                              ; =>This Inner Loop Header: Depth=1
	v_mul_hi_u32 v35, v34, s8
	s_add_i32 s3, s3, -2
	s_cmp_lg_u32 s3, 0
	v_lshrrev_b32_e32 v35, 15, v35
	v_mul_u32_u24_e32 v36, 0xadc8, v35
	v_sub_u32_e32 v34, v34, v36
	v_mul_lo_u32 v34, v34, s9
	v_mul_u32_u24_e32 v35, 0xd47, v35
	v_xor_b32_e32 v36, 0x7fffffff, v35
	v_cmp_lt_u32_e32 vcc, v34, v35
	v_sub_u32_e32 v35, 0, v35
	v_cndmask_b32_e32 v35, v35, v36, vcc
	v_add_u32_e32 v34, v35, v34
	v_mul_hi_u32 v36, v34, s8
	v_add_u32_e32 v35, -1, v34
	v_cvt_f32_u32_e32 v35, v35
	v_lshrrev_b32_e32 v36, 15, v36
	v_mul_u32_u24_e32 v37, 0xadc8, v36
	v_sub_u32_e32 v34, v34, v37
	v_mul_lo_u32 v34, v34, s9
	v_mul_u32_u24_e32 v36, 0xd47, v36
	v_xor_b32_e32 v37, 0x7fffffff, v36
	v_fma_f32 v35, v35, s10, 0
	v_cmp_lt_u32_e32 vcc, v34, v36
	v_sub_u32_e32 v36, 0, v36
	v_cndmask_b32_e32 v36, v36, v37, vcc
	v_add_u32_e32 v34, v36, v34
	v_add_u32_e32 v36, -1, v34
	v_cvt_f32_u32_e32 v36, v36
	v_fma_f32 v36, v36, s10, 0
	v_mul_f32_e32 v36, v36, v36
	v_fmac_f32_e32 v36, v35, v35
	v_cmp_gt_f32_e32 vcc, s11, v36
	v_mul_f32_e32 v35, 0x4f800000, v36
	v_cndmask_b32_e32 v35, v36, v35, vcc
	v_sqrt_f32_e32 v36, v35
	v_add_u32_e32 v37, -1, v36
	v_fma_f32 v38, -v37, v36, v35
	v_cmp_ge_f32_e64 s[0:1], 0, v38
	v_add_u32_e32 v38, 1, v36
	v_cndmask_b32_e64 v37, v36, v37, s[0:1]
	v_fma_f32 v36, -v38, v36, v35
	v_cmp_lt_f32_e64 s[0:1], 0, v36
	v_cndmask_b32_e64 v36, v37, v38, s[0:1]
	v_mul_f32_e32 v37, 0x37800000, v36
	v_cndmask_b32_e32 v36, v36, v37, vcc
	v_cmp_class_f32_e32 vcc, v35, v33
	v_cndmask_b32_e32 v35, v36, v35, vcc
	v_cmp_nge_f32_e32 vcc, 1.0, v35
	v_add_f32_e32 v35, 1.0, v5
	v_cndmask_b32_e32 v5, v35, v5, vcc
	v_mul_hi_u32 v35, v34, s8
	v_lshrrev_b32_e32 v35, 15, v35
	v_mul_u32_u24_e32 v36, 0xadc8, v35
	v_sub_u32_e32 v34, v34, v36
	v_mul_lo_u32 v34, v34, s9
	v_mul_u32_u24_e32 v35, 0xd47, v35
	v_xor_b32_e32 v36, 0x7fffffff, v35
	v_cmp_lt_u32_e32 vcc, v34, v35
	v_sub_u32_e32 v35, 0, v35
	v_cndmask_b32_e32 v35, v35, v36, vcc
	v_add_u32_e32 v34, v35, v34
	v_mul_hi_u32 v36, v34, s8
	v_add_u32_e32 v35, -1, v34
	v_cvt_f32_u32_e32 v35, v35
	v_lshrrev_b32_e32 v36, 15, v36
	v_mul_u32_u24_e32 v37, 0xadc8, v36
	v_sub_u32_e32 v34, v34, v37
	v_mul_lo_u32 v34, v34, s9
	v_mul_u32_u24_e32 v36, 0xd47, v36
	v_xor_b32_e32 v37, 0x7fffffff, v36
	v_fma_f32 v35, v35, s10, 0
	v_cmp_lt_u32_e32 vcc, v34, v36
	v_sub_u32_e32 v36, 0, v36
	v_cndmask_b32_e32 v36, v36, v37, vcc
	v_add_u32_e32 v34, v36, v34
	v_add_u32_e32 v36, -1, v34
	v_cvt_f32_u32_e32 v36, v36
	v_fma_f32 v36, v36, s10, 0
	v_mul_f32_e32 v36, v36, v36
	v_fmac_f32_e32 v36, v35, v35
	v_cmp_gt_f32_e32 vcc, s11, v36
	v_mul_f32_e32 v35, 0x4f800000, v36
	v_cndmask_b32_e32 v35, v36, v35, vcc
	v_sqrt_f32_e32 v36, v35
	v_add_u32_e32 v37, -1, v36
	v_fma_f32 v38, -v37, v36, v35
	v_cmp_ge_f32_e64 s[0:1], 0, v38
	v_add_u32_e32 v38, 1, v36
	v_cndmask_b32_e64 v37, v36, v37, s[0:1]
	v_fma_f32 v36, -v38, v36, v35
	v_cmp_lt_f32_e64 s[0:1], 0, v36
	v_cndmask_b32_e64 v36, v37, v38, s[0:1]
	v_mul_f32_e32 v37, 0x37800000, v36
	v_cndmask_b32_e32 v36, v36, v37, vcc
	v_cmp_class_f32_e32 vcc, v35, v33
	v_cndmask_b32_e32 v35, v36, v35, vcc
	v_cmp_nge_f32_e32 vcc, 1.0, v35
	v_add_f32_e32 v35, 1.0, v5
	v_cndmask_b32_e32 v5, v35, v5, vcc
	s_cbranch_scc1 .LBB31_68
; %bb.69:
	v_mul_f32_e32 v26, 4.0, v26
	s_mov_b32 s0, 0x461c4000
	v_div_scale_f32 v33, s[8:9], s0, s0, v26
	v_mul_f32_e32 v25, 4.0, v25
	v_mul_f32_e32 v24, 4.0, v24
	v_mul_f32_e32 v23, 4.0, v23
	v_mul_f32_e32 v22, 4.0, v22
	v_mul_f32_e32 v21, 4.0, v21
	v_mul_f32_e32 v20, 4.0, v20
	v_mul_f32_e32 v19, 4.0, v19
	v_mul_f32_e32 v18, 4.0, v18
	v_mul_f32_e32 v17, 4.0, v17
	v_mul_f32_e32 v16, 4.0, v16
	v_mul_f32_e32 v15, 4.0, v15
	v_mul_f32_e32 v14, 4.0, v14
	v_mul_f32_e32 v13, 4.0, v13
	v_mul_f32_e32 v12, 4.0, v12
	v_rcp_f32_e32 v34, v33
	v_mul_f32_e32 v11, 4.0, v11
	v_mul_f32_e32 v10, 4.0, v10
	;; [unrolled: 1-line block ×3, first 2 shown]
	v_fma_f32 v35, -v33, v34, 1.0
	v_fmac_f32_e32 v34, v35, v34
	v_div_scale_f32 v35, vcc, v26, s0, v26
	v_mul_f32_e32 v8, 4.0, v8
	v_mul_f32_e32 v7, 4.0, v7
	;; [unrolled: 1-line block ×14, first 2 shown]
	v_mul_f32_e32 v36, v35, v34
	v_fma_f32 v37, -v33, v36, v35
	v_fmac_f32_e32 v36, v37, v34
	v_fma_f32 v33, -v33, v36, v35
	v_div_fmas_f32 v33, v33, v34, v36
	v_div_fixup_f32 v26, v33, s0, v26
	v_div_scale_f32 v33, s[8:9], s0, s0, v25
	v_rcp_f32_e32 v34, v33
	v_fma_f32 v35, -v33, v34, 1.0
	v_fmac_f32_e32 v34, v35, v34
	v_div_scale_f32 v35, vcc, v25, s0, v25
	v_mul_f32_e32 v36, v35, v34
	v_fma_f32 v37, -v33, v36, v35
	v_fmac_f32_e32 v36, v37, v34
	v_fma_f32 v33, -v33, v36, v35
	v_div_fmas_f32 v33, v33, v34, v36
	v_div_fixup_f32 v25, v33, s0, v25
	v_div_scale_f32 v33, s[8:9], s0, s0, v24
	v_rcp_f32_e32 v34, v33
	v_fma_f32 v35, -v33, v34, 1.0
	v_fmac_f32_e32 v34, v35, v34
	v_div_scale_f32 v35, vcc, v24, s0, v24
	v_mul_f32_e32 v36, v35, v34
	v_fma_f32 v37, -v33, v36, v35
	v_fmac_f32_e32 v36, v37, v34
	v_fma_f32 v33, -v33, v36, v35
	v_div_fmas_f32 v33, v33, v34, v36
	v_div_fixup_f32 v24, v33, s0, v24
	v_div_scale_f32 v33, s[8:9], s0, s0, v23
	v_rcp_f32_e32 v34, v33
	v_fma_f32 v35, -v33, v34, 1.0
	v_fmac_f32_e32 v34, v35, v34
	v_div_scale_f32 v35, vcc, v23, s0, v23
	v_mul_f32_e32 v36, v35, v34
	v_fma_f32 v37, -v33, v36, v35
	v_fmac_f32_e32 v36, v37, v34
	v_fma_f32 v33, -v33, v36, v35
	v_div_fmas_f32 v33, v33, v34, v36
	v_div_fixup_f32 v23, v33, s0, v23
	v_div_scale_f32 v33, s[8:9], s0, s0, v22
	v_rcp_f32_e32 v34, v33
	v_fma_f32 v35, -v33, v34, 1.0
	v_fmac_f32_e32 v34, v35, v34
	v_div_scale_f32 v35, vcc, v22, s0, v22
	v_mul_f32_e32 v36, v35, v34
	v_fma_f32 v37, -v33, v36, v35
	v_fmac_f32_e32 v36, v37, v34
	v_fma_f32 v33, -v33, v36, v35
	v_div_fmas_f32 v33, v33, v34, v36
	v_div_fixup_f32 v22, v33, s0, v22
	v_div_scale_f32 v33, s[8:9], s0, s0, v21
	v_rcp_f32_e32 v34, v33
	v_fma_f32 v35, -v33, v34, 1.0
	v_fmac_f32_e32 v34, v35, v34
	v_div_scale_f32 v35, vcc, v21, s0, v21
	v_mul_f32_e32 v36, v35, v34
	v_fma_f32 v37, -v33, v36, v35
	v_fmac_f32_e32 v36, v37, v34
	v_fma_f32 v33, -v33, v36, v35
	v_div_fmas_f32 v33, v33, v34, v36
	v_div_fixup_f32 v21, v33, s0, v21
	v_div_scale_f32 v33, s[8:9], s0, s0, v20
	v_rcp_f32_e32 v34, v33
	v_fma_f32 v35, -v33, v34, 1.0
	v_fmac_f32_e32 v34, v35, v34
	v_div_scale_f32 v35, vcc, v20, s0, v20
	v_mul_f32_e32 v36, v35, v34
	v_fma_f32 v37, -v33, v36, v35
	v_fmac_f32_e32 v36, v37, v34
	v_fma_f32 v33, -v33, v36, v35
	v_div_fmas_f32 v33, v33, v34, v36
	v_div_fixup_f32 v20, v33, s0, v20
	v_div_scale_f32 v33, s[8:9], s0, s0, v19
	v_rcp_f32_e32 v34, v33
	v_fma_f32 v35, -v33, v34, 1.0
	v_fmac_f32_e32 v34, v35, v34
	v_div_scale_f32 v35, vcc, v19, s0, v19
	v_mul_f32_e32 v36, v35, v34
	v_fma_f32 v37, -v33, v36, v35
	v_fmac_f32_e32 v36, v37, v34
	v_fma_f32 v33, -v33, v36, v35
	v_div_fmas_f32 v33, v33, v34, v36
	v_div_fixup_f32 v19, v33, s0, v19
	v_div_scale_f32 v33, s[8:9], s0, s0, v18
	v_rcp_f32_e32 v34, v33
	v_fma_f32 v35, -v33, v34, 1.0
	v_fmac_f32_e32 v34, v35, v34
	v_div_scale_f32 v35, vcc, v18, s0, v18
	v_mul_f32_e32 v36, v35, v34
	v_fma_f32 v37, -v33, v36, v35
	v_fmac_f32_e32 v36, v37, v34
	v_fma_f32 v33, -v33, v36, v35
	v_div_fmas_f32 v33, v33, v34, v36
	v_div_fixup_f32 v18, v33, s0, v18
	v_div_scale_f32 v33, s[8:9], s0, s0, v17
	v_rcp_f32_e32 v34, v33
	v_fma_f32 v35, -v33, v34, 1.0
	v_fmac_f32_e32 v34, v35, v34
	v_div_scale_f32 v35, vcc, v17, s0, v17
	v_mul_f32_e32 v36, v35, v34
	v_fma_f32 v37, -v33, v36, v35
	v_fmac_f32_e32 v36, v37, v34
	v_fma_f32 v33, -v33, v36, v35
	v_div_fmas_f32 v33, v33, v34, v36
	v_div_fixup_f32 v17, v33, s0, v17
	v_div_scale_f32 v33, s[8:9], s0, s0, v16
	v_rcp_f32_e32 v34, v33
	v_fma_f32 v35, -v33, v34, 1.0
	v_fmac_f32_e32 v34, v35, v34
	v_div_scale_f32 v35, vcc, v16, s0, v16
	v_mul_f32_e32 v36, v35, v34
	v_fma_f32 v37, -v33, v36, v35
	v_fmac_f32_e32 v36, v37, v34
	v_fma_f32 v33, -v33, v36, v35
	v_div_fmas_f32 v33, v33, v34, v36
	v_div_fixup_f32 v16, v33, s0, v16
	v_div_scale_f32 v33, s[8:9], s0, s0, v15
	v_rcp_f32_e32 v34, v33
	v_fma_f32 v35, -v33, v34, 1.0
	v_fmac_f32_e32 v34, v35, v34
	v_div_scale_f32 v35, vcc, v15, s0, v15
	v_mul_f32_e32 v36, v35, v34
	v_fma_f32 v37, -v33, v36, v35
	v_fmac_f32_e32 v36, v37, v34
	v_fma_f32 v33, -v33, v36, v35
	v_div_fmas_f32 v33, v33, v34, v36
	v_div_fixup_f32 v15, v33, s0, v15
	v_div_scale_f32 v33, s[8:9], s0, s0, v14
	v_rcp_f32_e32 v34, v33
	v_fma_f32 v35, -v33, v34, 1.0
	v_fmac_f32_e32 v34, v35, v34
	v_div_scale_f32 v35, vcc, v14, s0, v14
	v_mul_f32_e32 v36, v35, v34
	v_fma_f32 v37, -v33, v36, v35
	v_fmac_f32_e32 v36, v37, v34
	v_fma_f32 v33, -v33, v36, v35
	v_div_fmas_f32 v33, v33, v34, v36
	v_div_fixup_f32 v14, v33, s0, v14
	v_div_scale_f32 v33, s[8:9], s0, s0, v13
	v_rcp_f32_e32 v34, v33
	v_fma_f32 v35, -v33, v34, 1.0
	v_fmac_f32_e32 v34, v35, v34
	v_div_scale_f32 v35, vcc, v13, s0, v13
	v_mul_f32_e32 v36, v35, v34
	v_fma_f32 v37, -v33, v36, v35
	v_fmac_f32_e32 v36, v37, v34
	v_fma_f32 v33, -v33, v36, v35
	v_div_fmas_f32 v33, v33, v34, v36
	v_div_fixup_f32 v13, v33, s0, v13
	v_div_scale_f32 v33, s[8:9], s0, s0, v12
	v_rcp_f32_e32 v34, v33
	v_fma_f32 v35, -v33, v34, 1.0
	v_fmac_f32_e32 v34, v35, v34
	v_div_scale_f32 v35, vcc, v12, s0, v12
	v_mul_f32_e32 v36, v35, v34
	v_fma_f32 v37, -v33, v36, v35
	v_fmac_f32_e32 v36, v37, v34
	v_fma_f32 v33, -v33, v36, v35
	v_div_fmas_f32 v33, v33, v34, v36
	v_div_fixup_f32 v12, v33, s0, v12
	v_div_scale_f32 v33, s[8:9], s0, s0, v11
	v_rcp_f32_e32 v34, v33
	v_fma_f32 v35, -v33, v34, 1.0
	v_fmac_f32_e32 v34, v35, v34
	v_div_scale_f32 v35, vcc, v11, s0, v11
	v_mul_f32_e32 v36, v35, v34
	v_fma_f32 v37, -v33, v36, v35
	v_fmac_f32_e32 v36, v37, v34
	v_fma_f32 v33, -v33, v36, v35
	v_div_fmas_f32 v33, v33, v34, v36
	v_div_fixup_f32 v11, v33, s0, v11
	v_div_scale_f32 v33, s[8:9], s0, s0, v10
	v_rcp_f32_e32 v34, v33
	v_fma_f32 v35, -v33, v34, 1.0
	v_fmac_f32_e32 v34, v35, v34
	v_div_scale_f32 v35, vcc, v10, s0, v10
	v_mul_f32_e32 v36, v35, v34
	v_fma_f32 v37, -v33, v36, v35
	v_fmac_f32_e32 v36, v37, v34
	v_fma_f32 v33, -v33, v36, v35
	v_div_fmas_f32 v33, v33, v34, v36
	v_div_fixup_f32 v10, v33, s0, v10
	v_div_scale_f32 v33, s[8:9], s0, s0, v9
	v_rcp_f32_e32 v34, v33
	v_fma_f32 v35, -v33, v34, 1.0
	v_fmac_f32_e32 v34, v35, v34
	v_div_scale_f32 v35, vcc, v9, s0, v9
	v_mul_f32_e32 v36, v35, v34
	v_fma_f32 v37, -v33, v36, v35
	v_fmac_f32_e32 v36, v37, v34
	v_fma_f32 v33, -v33, v36, v35
	v_div_fmas_f32 v33, v33, v34, v36
	v_div_fixup_f32 v9, v33, s0, v9
	v_div_scale_f32 v33, s[8:9], s0, s0, v8
	v_rcp_f32_e32 v34, v33
	v_fma_f32 v35, -v33, v34, 1.0
	v_fmac_f32_e32 v34, v35, v34
	v_div_scale_f32 v35, vcc, v8, s0, v8
	v_mul_f32_e32 v36, v35, v34
	v_fma_f32 v37, -v33, v36, v35
	v_fmac_f32_e32 v36, v37, v34
	v_fma_f32 v33, -v33, v36, v35
	v_div_fmas_f32 v33, v33, v34, v36
	v_div_fixup_f32 v8, v33, s0, v8
	v_div_scale_f32 v33, s[8:9], s0, s0, v7
	v_rcp_f32_e32 v34, v33
	v_fma_f32 v35, -v33, v34, 1.0
	v_fmac_f32_e32 v34, v35, v34
	v_div_scale_f32 v35, vcc, v7, s0, v7
	v_mul_f32_e32 v36, v35, v34
	v_fma_f32 v37, -v33, v36, v35
	v_fmac_f32_e32 v36, v37, v34
	v_fma_f32 v33, -v33, v36, v35
	v_div_fmas_f32 v33, v33, v34, v36
	v_div_fixup_f32 v7, v33, s0, v7
	v_div_scale_f32 v33, s[8:9], s0, s0, v6
	v_rcp_f32_e32 v34, v33
	v_fma_f32 v35, -v33, v34, 1.0
	v_fmac_f32_e32 v34, v35, v34
	v_div_scale_f32 v35, vcc, v6, s0, v6
	v_mul_f32_e32 v36, v35, v34
	v_fma_f32 v37, -v33, v36, v35
	v_fmac_f32_e32 v36, v37, v34
	v_fma_f32 v33, -v33, v36, v35
	v_div_fmas_f32 v33, v33, v34, v36
	v_div_fixup_f32 v6, v33, s0, v6
	v_div_scale_f32 v33, s[8:9], s0, s0, v4
	v_rcp_f32_e32 v34, v33
	v_fma_f32 v35, -v33, v34, 1.0
	v_fmac_f32_e32 v34, v35, v34
	v_div_scale_f32 v35, vcc, v4, s0, v4
	v_mul_f32_e32 v36, v35, v34
	v_fma_f32 v37, -v33, v36, v35
	v_fmac_f32_e32 v36, v37, v34
	v_fma_f32 v33, -v33, v36, v35
	v_div_fmas_f32 v33, v33, v34, v36
	v_div_fixup_f32 v4, v33, s0, v4
	v_div_scale_f32 v33, s[8:9], s0, s0, v3
	v_rcp_f32_e32 v34, v33
	v_fma_f32 v35, -v33, v34, 1.0
	v_fmac_f32_e32 v34, v35, v34
	v_div_scale_f32 v35, vcc, v3, s0, v3
	v_mul_f32_e32 v36, v35, v34
	v_fma_f32 v37, -v33, v36, v35
	v_fmac_f32_e32 v36, v37, v34
	v_fma_f32 v33, -v33, v36, v35
	v_div_fmas_f32 v33, v33, v34, v36
	v_div_fixup_f32 v3, v33, s0, v3
	v_div_scale_f32 v33, s[8:9], s0, s0, v2
	v_rcp_f32_e32 v34, v33
	v_fma_f32 v35, -v33, v34, 1.0
	v_fmac_f32_e32 v34, v35, v34
	v_div_scale_f32 v35, vcc, v2, s0, v2
	v_mul_f32_e32 v36, v35, v34
	v_fma_f32 v37, -v33, v36, v35
	v_fmac_f32_e32 v36, v37, v34
	v_fma_f32 v33, -v33, v36, v35
	v_div_fmas_f32 v33, v33, v34, v36
	v_div_fixup_f32 v2, v33, s0, v2
	v_div_scale_f32 v33, s[8:9], s0, s0, v1
	v_rcp_f32_e32 v34, v33
	v_fma_f32 v35, -v33, v34, 1.0
	v_fmac_f32_e32 v34, v35, v34
	v_div_scale_f32 v35, vcc, v1, s0, v1
	v_mul_f32_e32 v36, v35, v34
	v_fma_f32 v37, -v33, v36, v35
	v_fmac_f32_e32 v36, v37, v34
	v_fma_f32 v33, -v33, v36, v35
	v_div_fmas_f32 v33, v33, v34, v36
	v_div_fixup_f32 v1, v33, s0, v1
	v_div_scale_f32 v33, s[8:9], s0, s0, v27
	v_add_f32_e32 v1, v1, v2
	v_add_f32_e32 v1, v1, v3
	v_add_f32_e32 v1, v1, v4
	v_add_f32_e32 v1, v1, v6
	v_add_f32_e32 v1, v1, v7
	v_add_f32_e32 v1, v1, v8
	v_add_f32_e32 v1, v1, v9
	v_add_f32_e32 v1, v1, v10
	v_add_f32_e32 v1, v1, v11
	v_add_f32_e32 v1, v1, v12
	v_add_f32_e32 v1, v1, v13
	v_add_f32_e32 v1, v1, v14
	v_add_f32_e32 v1, v1, v15
	v_add_f32_e32 v1, v1, v16
	v_rcp_f32_e32 v34, v33
	v_add_f32_e32 v1, v1, v17
	v_add_f32_e32 v1, v1, v18
	;; [unrolled: 1-line block ×3, first 2 shown]
	v_fma_f32 v35, -v33, v34, 1.0
	v_fmac_f32_e32 v34, v35, v34
	v_div_scale_f32 v35, vcc, v27, s0, v27
	v_add_f32_e32 v1, v1, v20
	v_add_f32_e32 v1, v1, v21
	v_add_f32_e32 v1, v1, v22
	v_add_f32_e32 v1, v1, v23
	v_add_f32_e32 v1, v1, v24
	v_add_f32_e32 v1, v1, v25
	v_add_f32_e32 v1, v1, v26
	v_mbcnt_lo_u32_b32 v2, -1, 0
	v_mbcnt_hi_u32_b32 v2, -1, v2
	v_lshlrev_b32_e32 v3, 2, v2
	v_or_b32_e32 v4, 0xfc, v3
	v_mul_f32_e32 v36, v35, v34
	v_fma_f32 v37, -v33, v36, v35
	v_fmac_f32_e32 v36, v37, v34
	v_fma_f32 v33, -v33, v36, v35
	v_div_fmas_f32 v33, v33, v34, v36
	v_div_fixup_f32 v27, v33, s0, v27
	v_div_scale_f32 v33, s[8:9], s0, s0, v29
	v_add_f32_e32 v1, v1, v27
	v_rcp_f32_e32 v34, v33
	v_fma_f32 v35, -v33, v34, 1.0
	v_fmac_f32_e32 v34, v35, v34
	v_div_scale_f32 v35, vcc, v29, s0, v29
	v_mul_f32_e32 v36, v35, v34
	v_fma_f32 v37, -v33, v36, v35
	v_fmac_f32_e32 v36, v37, v34
	v_fma_f32 v33, -v33, v36, v35
	v_div_fmas_f32 v33, v33, v34, v36
	v_div_fixup_f32 v29, v33, s0, v29
	v_div_scale_f32 v33, s[8:9], s0, s0, v28
	v_add_f32_e32 v1, v1, v29
	v_rcp_f32_e32 v34, v33
	v_fma_f32 v35, -v33, v34, 1.0
	v_fmac_f32_e32 v34, v35, v34
	v_div_scale_f32 v35, vcc, v28, s0, v28
	;; [unrolled: 12-line block ×6, first 2 shown]
	v_mul_f32_e32 v36, v35, v34
	v_fma_f32 v37, -v33, v36, v35
	v_fmac_f32_e32 v36, v37, v34
	v_fma_f32 v33, -v33, v36, v35
	v_div_fmas_f32 v33, v33, v34, v36
	v_cmp_eq_u32_e32 vcc, 0, v2
	v_div_fixup_f32 v5, v33, s0, v5
	v_add_f32_e32 v1, v1, v5
	s_nop 1
	v_add_f32_dpp v1, v1, v1 quad_perm:[1,0,3,2] row_mask:0xf bank_mask:0xf bound_ctrl:1
	s_nop 1
	v_add_f32_dpp v1, v1, v1 quad_perm:[2,3,0,1] row_mask:0xf bank_mask:0xf bound_ctrl:1
	s_nop 1
	v_add_f32_dpp v1, v1, v1 row_ror:4 row_mask:0xf bank_mask:0xf bound_ctrl:1
	s_nop 1
	v_add_f32_dpp v1, v1, v1 row_ror:8 row_mask:0xf bank_mask:0xf bound_ctrl:1
	s_nop 1
	v_add_f32_dpp v1, v1, v1 row_bcast:15 row_mask:0xf bank_mask:0xf bound_ctrl:1
	s_nop 1
	v_add_f32_dpp v1, v1, v1 row_bcast:31 row_mask:0xf bank_mask:0xf bound_ctrl:1
	ds_bpermute_b32 v1, v4, v1
	s_and_saveexec_b64 s[0:1], vcc
	s_cbranch_execz .LBB31_71
; %bb.70:
	v_lshrrev_b32_e32 v4, 4, v0
	v_and_b32_e32 v4, 12, v4
	s_waitcnt lgkmcnt(0)
	ds_write_b32 v4, v1 offset:48
.LBB31_71:
	s_or_b64 exec, exec, s[0:1]
	v_cmp_gt_u32_e32 vcc, 64, v0
	s_waitcnt lgkmcnt(0)
	s_barrier
	s_and_saveexec_b64 s[0:1], vcc
	s_cbranch_execz .LBB31_73
; %bb.72:
	v_and_b32_e32 v1, 3, v2
	v_lshlrev_b32_e32 v4, 2, v1
	ds_read_b32 v4, v4 offset:48
	v_cmp_ne_u32_e32 vcc, 3, v1
	v_addc_co_u32_e32 v1, vcc, 0, v2, vcc
	v_lshlrev_b32_e32 v1, 2, v1
	s_waitcnt lgkmcnt(0)
	ds_bpermute_b32 v1, v1, v4
	v_or_b32_e32 v2, 8, v3
	s_waitcnt lgkmcnt(0)
	v_add_f32_e32 v1, v4, v1
	ds_bpermute_b32 v2, v2, v1
	s_waitcnt lgkmcnt(0)
	v_add_f32_e32 v1, v1, v2
.LBB31_73:
	s_or_b64 exec, exec, s[0:1]
.LBB31_74:
	v_cmp_eq_u32_e64 s[0:1], 0, v0
	s_and_b64 vcc, exec, s[76:77]
	s_cbranch_vccnz .LBB31_79
	s_branch .LBB31_253
.LBB31_75:
	s_mov_b64 s[0:1], 0
                                        ; implicit-def: $vgpr1
	s_cbranch_execnz .LBB31_390
	s_branch .LBB31_474
.LBB31_76:
	s_mov_b64 s[0:1], 0
                                        ; implicit-def: $vgpr1
	s_cbranch_execnz .LBB31_326
	s_branch .LBB31_350
.LBB31_77:
	s_mov_b64 s[76:77], -1
.LBB31_78:
	s_mov_b64 s[0:1], 0
                                        ; implicit-def: $vgpr1
	s_and_b64 vcc, exec, s[76:77]
	s_cbranch_vccz .LBB31_253
.LBB31_79:
	s_cmp_eq_u32 s70, 16
	s_cbranch_scc0 .LBB31_118
; %bb.80:
	s_lshl_b32 s10, s6, 12
	s_mov_b32 s7, 0
	s_lshr_b64 s[0:1], s[72:73], 12
	s_add_i32 s33, s71, s10
	s_cmp_lg_u64 s[0:1], s[6:7]
	s_cbranch_scc0 .LBB31_254
; %bb.81:
	v_add_u32_e32 v2, s33, v0
	v_lshlrev_b32_e32 v1, 12, v2
	s_mov_b32 s0, 0x7ed55d16
	v_add3_u32 v1, v2, v1, s0
	v_lshrrev_b32_e32 v3, 19, v1
	v_xor_b32_e32 v1, v1, v3
	v_xor_b32_e32 v1, 0xc761c23c, v1
	v_lshl_add_u32 v1, v1, 5, v1
	v_mov_b32_e32 v4, 0xaccf6200
	v_add_u32_e32 v3, 0xe9f8cc1d, v1
	v_lshl_add_u32 v1, v1, 9, v4
	v_xor_b32_e32 v1, v3, v1
	v_lshlrev_b32_e32 v3, 3, v1
	s_mov_b32 s0, 0xfd7046c5
	v_add3_u32 v1, v1, v3, s0
	v_xor_b32_sdwa v1, v1, v1 dst_sel:DWORD dst_unused:UNUSED_PAD src0_sel:DWORD src1_sel:WORD_1
	v_xor_b32_e32 v3, 0xb55a4f09, v1
	v_mul_hi_u32 v1, v3, 3
	s_brev_b32 s0, -2
	s_movk_i32 s2, 0x2710
	s_mov_b32 s3, 0xbc8f1391
	v_sub_u32_e32 v4, v3, v1
	v_lshrrev_b32_e32 v4, 1, v4
	v_add_u32_e32 v1, v4, v1
	v_lshrrev_b32_e32 v1, 30, v1
	v_mul_lo_u32 v4, v1, s0
	v_mov_b32_e32 v1, 0
	s_mov_b32 s8, 0xbc8f
	s_brev_b32 s9, 12
	v_sub_u32_e32 v3, v3, v4
	v_max_u32_e32 v4, 1, v3
	s_mov_b32 s11, 0xf800000
	v_mov_b32_e32 v3, 0x260
.LBB31_82:                              ; =>This Inner Loop Header: Depth=1
	v_mul_hi_u32 v5, v4, s3
	v_add_f32_e32 v6, 1.0, v1
	s_add_i32 s2, s2, -2
	s_cmp_lg_u32 s2, 0
	v_lshrrev_b32_e32 v5, 15, v5
	v_mul_u32_u24_e32 v7, 0xadc8, v5
	v_sub_u32_e32 v4, v4, v7
	v_mul_lo_u32 v4, v4, s8
	v_mul_u32_u24_e32 v5, 0xd47, v5
	v_xor_b32_e32 v7, 0x7fffffff, v5
	v_sub_u32_e32 v8, 0, v5
	v_cmp_lt_u32_e32 vcc, v4, v5
	v_cndmask_b32_e32 v5, v8, v7, vcc
	v_add_u32_e32 v4, v5, v4
	v_mul_hi_u32 v7, v4, s3
	v_add_u32_e32 v5, -1, v4
	v_cvt_f32_u32_e32 v5, v5
	v_lshrrev_b32_e32 v7, 15, v7
	v_mul_u32_u24_e32 v8, 0xadc8, v7
	v_sub_u32_e32 v4, v4, v8
	v_mul_lo_u32 v4, v4, s8
	v_mul_u32_u24_e32 v7, 0xd47, v7
	v_xor_b32_e32 v8, 0x7fffffff, v7
	v_sub_u32_e32 v9, 0, v7
	v_cmp_lt_u32_e32 vcc, v4, v7
	v_cndmask_b32_e32 v7, v9, v8, vcc
	v_add_u32_e32 v4, v7, v4
	v_mul_hi_u32 v8, v4, s3
	v_add_u32_e32 v7, -1, v4
	v_cvt_f32_u32_e32 v7, v7
	v_fma_f32 v5, v5, s9, 0
	v_lshrrev_b32_e32 v8, 15, v8
	v_mul_u32_u24_e32 v9, 0xadc8, v8
	v_fma_f32 v7, v7, s9, 0
	v_sub_u32_e32 v4, v4, v9
	v_mul_f32_e32 v7, v7, v7
	v_mul_lo_u32 v4, v4, s8
	v_fmac_f32_e32 v7, v5, v5
	v_mul_f32_e32 v5, 0x4f800000, v7
	v_cmp_gt_f32_e32 vcc, s11, v7
	v_mul_u32_u24_e32 v8, 0xd47, v8
	v_cndmask_b32_e32 v5, v7, v5, vcc
	v_xor_b32_e32 v9, 0x7fffffff, v8
	v_sub_u32_e32 v10, 0, v8
	v_sqrt_f32_e32 v7, v5
	v_cmp_lt_u32_e64 s[0:1], v4, v8
	v_cndmask_b32_e64 v8, v10, v9, s[0:1]
	v_add_u32_e32 v4, v8, v4
	v_mul_hi_u32 v9, v4, s3
	v_add_u32_e32 v10, -1, v7
	v_add_u32_e32 v11, 1, v7
	v_fma_f32 v12, -v10, v7, v5
	v_fma_f32 v13, -v11, v7, v5
	v_cmp_ge_f32_e64 s[0:1], 0, v12
	v_cndmask_b32_e64 v7, v7, v10, s[0:1]
	v_cmp_lt_f32_e64 s[0:1], 0, v13
	v_lshrrev_b32_e32 v9, 15, v9
	v_cndmask_b32_e64 v7, v7, v11, s[0:1]
	v_mul_u32_u24_e32 v11, 0xadc8, v9
	v_add_u32_e32 v8, -1, v4
	v_sub_u32_e32 v4, v4, v11
	v_mul_f32_e32 v10, 0x37800000, v7
	v_mul_lo_u32 v4, v4, s8
	v_cndmask_b32_e32 v7, v7, v10, vcc
	v_cmp_class_f32_e32 vcc, v5, v3
	v_cndmask_b32_e32 v5, v7, v5, vcc
	v_mul_u32_u24_e32 v9, 0xd47, v9
	v_cmp_nge_f32_e32 vcc, 1.0, v5
	v_xor_b32_e32 v10, 0x7fffffff, v9
	v_sub_u32_e32 v11, 0, v9
	v_cndmask_b32_e32 v1, v6, v1, vcc
	v_cmp_lt_u32_e32 vcc, v4, v9
	v_cndmask_b32_e32 v6, v11, v10, vcc
	v_add_u32_e32 v4, v6, v4
	v_add_u32_e32 v6, -1, v4
	v_cvt_f32_u32_e32 v6, v6
	v_cvt_f32_u32_e32 v8, v8
	v_add_f32_e32 v5, 1.0, v1
	v_fma_f32 v6, v6, s9, 0
	v_fma_f32 v8, v8, s9, 0
	v_mul_f32_e32 v6, v6, v6
	v_fmac_f32_e32 v6, v8, v8
	v_mul_f32_e32 v7, 0x4f800000, v6
	v_cmp_gt_f32_e32 vcc, s11, v6
	v_cndmask_b32_e32 v6, v6, v7, vcc
	v_sqrt_f32_e32 v7, v6
	v_add_u32_e32 v8, -1, v7
	v_add_u32_e32 v9, 1, v7
	v_fma_f32 v10, -v8, v7, v6
	v_fma_f32 v11, -v9, v7, v6
	v_cmp_ge_f32_e64 s[0:1], 0, v10
	v_cndmask_b32_e64 v7, v7, v8, s[0:1]
	v_cmp_lt_f32_e64 s[0:1], 0, v11
	v_cndmask_b32_e64 v7, v7, v9, s[0:1]
	v_mul_f32_e32 v8, 0x37800000, v7
	v_cndmask_b32_e32 v7, v7, v8, vcc
	v_cmp_class_f32_e32 vcc, v6, v3
	v_cndmask_b32_e32 v6, v7, v6, vcc
	v_cmp_nge_f32_e32 vcc, 1.0, v6
	v_cndmask_b32_e32 v1, v5, v1, vcc
	s_cbranch_scc1 .LBB31_82
; %bb.83:
	v_lshl_add_u32 v4, v2, 12, v2
	v_add_u32_e32 v2, 0x7ee55e16, v4
	v_lshrrev_b32_e32 v3, 19, v2
	v_xor_b32_e32 v2, v2, v3
	v_xor_b32_e32 v2, 0xc761c23c, v2
	v_lshl_add_u32 v2, v2, 5, v2
	v_mov_b32_e32 v5, 0xaccf6200
	v_add_u32_e32 v3, 0xe9f8cc1d, v2
	v_lshl_add_u32 v2, v2, 9, v5
	v_xor_b32_e32 v2, v3, v2
	v_lshlrev_b32_e32 v3, 3, v2
	s_mov_b32 s0, 0xfd7046c5
	v_add3_u32 v2, v2, v3, s0
	v_xor_b32_sdwa v2, v2, v2 dst_sel:DWORD dst_unused:UNUSED_PAD src0_sel:DWORD src1_sel:WORD_1
	v_xor_b32_e32 v3, 0xb55a4f09, v2
	v_mul_hi_u32 v2, v3, 3
	s_brev_b32 s0, -2
	s_movk_i32 s2, 0x2710
	s_mov_b32 s3, 0xbc8f1391
	v_sub_u32_e32 v5, v3, v2
	v_lshrrev_b32_e32 v5, 1, v5
	v_add_u32_e32 v2, v5, v2
	v_lshrrev_b32_e32 v2, 30, v2
	v_mul_lo_u32 v5, v2, s0
	v_mov_b32_e32 v2, 0
	s_mov_b32 s8, 0xbc8f
	s_brev_b32 s9, 12
	v_sub_u32_e32 v3, v3, v5
	v_max_u32_e32 v5, 1, v3
	s_mov_b32 s11, 0xf800000
	v_mov_b32_e32 v3, 0x260
.LBB31_84:                              ; =>This Inner Loop Header: Depth=1
	v_mul_hi_u32 v6, v5, s3
	v_add_f32_e32 v7, 1.0, v2
	s_add_i32 s2, s2, -2
	s_cmp_lg_u32 s2, 0
	v_lshrrev_b32_e32 v6, 15, v6
	v_mul_u32_u24_e32 v8, 0xadc8, v6
	v_sub_u32_e32 v5, v5, v8
	v_mul_lo_u32 v5, v5, s8
	v_mul_u32_u24_e32 v6, 0xd47, v6
	v_xor_b32_e32 v8, 0x7fffffff, v6
	v_sub_u32_e32 v9, 0, v6
	v_cmp_lt_u32_e32 vcc, v5, v6
	v_cndmask_b32_e32 v6, v9, v8, vcc
	v_add_u32_e32 v5, v6, v5
	v_mul_hi_u32 v8, v5, s3
	v_add_u32_e32 v6, -1, v5
	v_cvt_f32_u32_e32 v6, v6
	v_lshrrev_b32_e32 v8, 15, v8
	v_mul_u32_u24_e32 v9, 0xadc8, v8
	v_sub_u32_e32 v5, v5, v9
	v_mul_lo_u32 v5, v5, s8
	v_mul_u32_u24_e32 v8, 0xd47, v8
	v_xor_b32_e32 v9, 0x7fffffff, v8
	v_sub_u32_e32 v10, 0, v8
	v_cmp_lt_u32_e32 vcc, v5, v8
	v_cndmask_b32_e32 v8, v10, v9, vcc
	v_add_u32_e32 v5, v8, v5
	v_mul_hi_u32 v9, v5, s3
	v_add_u32_e32 v8, -1, v5
	v_cvt_f32_u32_e32 v8, v8
	v_fma_f32 v6, v6, s9, 0
	v_lshrrev_b32_e32 v9, 15, v9
	v_mul_u32_u24_e32 v10, 0xadc8, v9
	v_fma_f32 v8, v8, s9, 0
	v_sub_u32_e32 v5, v5, v10
	v_mul_f32_e32 v8, v8, v8
	v_mul_lo_u32 v5, v5, s8
	v_fmac_f32_e32 v8, v6, v6
	v_mul_f32_e32 v6, 0x4f800000, v8
	v_cmp_gt_f32_e32 vcc, s11, v8
	v_mul_u32_u24_e32 v9, 0xd47, v9
	v_cndmask_b32_e32 v6, v8, v6, vcc
	v_xor_b32_e32 v10, 0x7fffffff, v9
	v_sub_u32_e32 v11, 0, v9
	v_sqrt_f32_e32 v8, v6
	v_cmp_lt_u32_e64 s[0:1], v5, v9
	v_cndmask_b32_e64 v9, v11, v10, s[0:1]
	v_add_u32_e32 v5, v9, v5
	v_mul_hi_u32 v10, v5, s3
	v_add_u32_e32 v11, -1, v8
	v_add_u32_e32 v12, 1, v8
	v_fma_f32 v13, -v11, v8, v6
	v_fma_f32 v14, -v12, v8, v6
	v_cmp_ge_f32_e64 s[0:1], 0, v13
	v_cndmask_b32_e64 v8, v8, v11, s[0:1]
	v_cmp_lt_f32_e64 s[0:1], 0, v14
	v_lshrrev_b32_e32 v10, 15, v10
	v_cndmask_b32_e64 v8, v8, v12, s[0:1]
	v_mul_u32_u24_e32 v12, 0xadc8, v10
	v_add_u32_e32 v9, -1, v5
	v_sub_u32_e32 v5, v5, v12
	v_mul_f32_e32 v11, 0x37800000, v8
	v_mul_lo_u32 v5, v5, s8
	v_cndmask_b32_e32 v8, v8, v11, vcc
	v_cmp_class_f32_e32 vcc, v6, v3
	v_cndmask_b32_e32 v6, v8, v6, vcc
	v_mul_u32_u24_e32 v10, 0xd47, v10
	v_cmp_nge_f32_e32 vcc, 1.0, v6
	v_xor_b32_e32 v11, 0x7fffffff, v10
	v_sub_u32_e32 v12, 0, v10
	v_cndmask_b32_e32 v2, v7, v2, vcc
	v_cmp_lt_u32_e32 vcc, v5, v10
	v_cndmask_b32_e32 v7, v12, v11, vcc
	v_add_u32_e32 v5, v7, v5
	v_add_u32_e32 v7, -1, v5
	v_cvt_f32_u32_e32 v7, v7
	v_cvt_f32_u32_e32 v9, v9
	v_add_f32_e32 v6, 1.0, v2
	v_fma_f32 v7, v7, s9, 0
	v_fma_f32 v9, v9, s9, 0
	v_mul_f32_e32 v7, v7, v7
	v_fmac_f32_e32 v7, v9, v9
	v_mul_f32_e32 v8, 0x4f800000, v7
	v_cmp_gt_f32_e32 vcc, s11, v7
	v_cndmask_b32_e32 v7, v7, v8, vcc
	v_sqrt_f32_e32 v8, v7
	v_add_u32_e32 v9, -1, v8
	v_add_u32_e32 v10, 1, v8
	v_fma_f32 v11, -v9, v8, v7
	v_fma_f32 v12, -v10, v8, v7
	v_cmp_ge_f32_e64 s[0:1], 0, v11
	v_cndmask_b32_e64 v8, v8, v9, s[0:1]
	v_cmp_lt_f32_e64 s[0:1], 0, v12
	v_cndmask_b32_e64 v8, v8, v10, s[0:1]
	v_mul_f32_e32 v9, 0x37800000, v8
	v_cndmask_b32_e32 v8, v8, v9, vcc
	v_cmp_class_f32_e32 vcc, v7, v3
	v_cndmask_b32_e32 v7, v8, v7, vcc
	v_cmp_nge_f32_e32 vcc, 1.0, v7
	v_cndmask_b32_e32 v2, v6, v2, vcc
	s_cbranch_scc1 .LBB31_84
; %bb.85:
	v_add_u32_e32 v3, 0x7ef55f16, v4
	v_lshrrev_b32_e32 v5, 19, v3
	v_xor_b32_e32 v3, v3, v5
	v_xor_b32_e32 v3, 0xc761c23c, v3
	v_lshl_add_u32 v3, v3, 5, v3
	v_mov_b32_e32 v6, 0xaccf6200
	v_add_u32_e32 v5, 0xe9f8cc1d, v3
	v_lshl_add_u32 v3, v3, 9, v6
	v_xor_b32_e32 v3, v5, v3
	v_lshlrev_b32_e32 v5, 3, v3
	s_mov_b32 s0, 0xfd7046c5
	v_add3_u32 v3, v3, v5, s0
	v_xor_b32_sdwa v3, v3, v3 dst_sel:DWORD dst_unused:UNUSED_PAD src0_sel:DWORD src1_sel:WORD_1
	v_xor_b32_e32 v5, 0xb55a4f09, v3
	v_mul_hi_u32 v3, v5, 3
	s_brev_b32 s0, -2
	s_movk_i32 s2, 0x2710
	s_mov_b32 s3, 0xbc8f1391
	v_sub_u32_e32 v6, v5, v3
	v_lshrrev_b32_e32 v6, 1, v6
	v_add_u32_e32 v3, v6, v3
	v_lshrrev_b32_e32 v3, 30, v3
	v_mul_lo_u32 v6, v3, s0
	v_mov_b32_e32 v3, 0
	s_mov_b32 s8, 0xbc8f
	s_brev_b32 s9, 12
	v_sub_u32_e32 v5, v5, v6
	v_max_u32_e32 v6, 1, v5
	s_mov_b32 s11, 0xf800000
	v_mov_b32_e32 v5, 0x260
.LBB31_86:                              ; =>This Inner Loop Header: Depth=1
	v_mul_hi_u32 v7, v6, s3
	v_add_f32_e32 v8, 1.0, v3
	s_add_i32 s2, s2, -2
	s_cmp_lg_u32 s2, 0
	v_lshrrev_b32_e32 v7, 15, v7
	v_mul_u32_u24_e32 v9, 0xadc8, v7
	v_sub_u32_e32 v6, v6, v9
	v_mul_lo_u32 v6, v6, s8
	v_mul_u32_u24_e32 v7, 0xd47, v7
	v_xor_b32_e32 v9, 0x7fffffff, v7
	v_sub_u32_e32 v10, 0, v7
	v_cmp_lt_u32_e32 vcc, v6, v7
	v_cndmask_b32_e32 v7, v10, v9, vcc
	v_add_u32_e32 v6, v7, v6
	v_mul_hi_u32 v9, v6, s3
	v_add_u32_e32 v7, -1, v6
	v_cvt_f32_u32_e32 v7, v7
	v_lshrrev_b32_e32 v9, 15, v9
	v_mul_u32_u24_e32 v10, 0xadc8, v9
	v_sub_u32_e32 v6, v6, v10
	v_mul_lo_u32 v6, v6, s8
	v_mul_u32_u24_e32 v9, 0xd47, v9
	v_xor_b32_e32 v10, 0x7fffffff, v9
	v_sub_u32_e32 v11, 0, v9
	v_cmp_lt_u32_e32 vcc, v6, v9
	v_cndmask_b32_e32 v9, v11, v10, vcc
	v_add_u32_e32 v6, v9, v6
	v_mul_hi_u32 v10, v6, s3
	v_add_u32_e32 v9, -1, v6
	v_cvt_f32_u32_e32 v9, v9
	v_fma_f32 v7, v7, s9, 0
	v_lshrrev_b32_e32 v10, 15, v10
	v_mul_u32_u24_e32 v11, 0xadc8, v10
	v_fma_f32 v9, v9, s9, 0
	v_sub_u32_e32 v6, v6, v11
	v_mul_f32_e32 v9, v9, v9
	v_mul_lo_u32 v6, v6, s8
	v_fmac_f32_e32 v9, v7, v7
	v_mul_f32_e32 v7, 0x4f800000, v9
	v_cmp_gt_f32_e32 vcc, s11, v9
	v_mul_u32_u24_e32 v10, 0xd47, v10
	v_cndmask_b32_e32 v7, v9, v7, vcc
	v_xor_b32_e32 v11, 0x7fffffff, v10
	v_sub_u32_e32 v12, 0, v10
	v_sqrt_f32_e32 v9, v7
	v_cmp_lt_u32_e64 s[0:1], v6, v10
	v_cndmask_b32_e64 v10, v12, v11, s[0:1]
	v_add_u32_e32 v6, v10, v6
	v_mul_hi_u32 v11, v6, s3
	v_add_u32_e32 v12, -1, v9
	v_add_u32_e32 v13, 1, v9
	v_fma_f32 v14, -v12, v9, v7
	v_fma_f32 v15, -v13, v9, v7
	v_cmp_ge_f32_e64 s[0:1], 0, v14
	v_cndmask_b32_e64 v9, v9, v12, s[0:1]
	v_cmp_lt_f32_e64 s[0:1], 0, v15
	v_lshrrev_b32_e32 v11, 15, v11
	v_cndmask_b32_e64 v9, v9, v13, s[0:1]
	v_mul_u32_u24_e32 v13, 0xadc8, v11
	v_add_u32_e32 v10, -1, v6
	v_sub_u32_e32 v6, v6, v13
	v_mul_f32_e32 v12, 0x37800000, v9
	v_mul_lo_u32 v6, v6, s8
	v_cndmask_b32_e32 v9, v9, v12, vcc
	v_cmp_class_f32_e32 vcc, v7, v5
	v_cndmask_b32_e32 v7, v9, v7, vcc
	v_mul_u32_u24_e32 v11, 0xd47, v11
	v_cmp_nge_f32_e32 vcc, 1.0, v7
	v_xor_b32_e32 v12, 0x7fffffff, v11
	v_sub_u32_e32 v13, 0, v11
	v_cndmask_b32_e32 v3, v8, v3, vcc
	v_cmp_lt_u32_e32 vcc, v6, v11
	v_cndmask_b32_e32 v8, v13, v12, vcc
	v_add_u32_e32 v6, v8, v6
	v_add_u32_e32 v8, -1, v6
	v_cvt_f32_u32_e32 v8, v8
	v_cvt_f32_u32_e32 v10, v10
	v_add_f32_e32 v7, 1.0, v3
	v_fma_f32 v8, v8, s9, 0
	v_fma_f32 v10, v10, s9, 0
	v_mul_f32_e32 v8, v8, v8
	v_fmac_f32_e32 v8, v10, v10
	v_mul_f32_e32 v9, 0x4f800000, v8
	v_cmp_gt_f32_e32 vcc, s11, v8
	v_cndmask_b32_e32 v8, v8, v9, vcc
	v_sqrt_f32_e32 v9, v8
	v_add_u32_e32 v10, -1, v9
	v_add_u32_e32 v11, 1, v9
	v_fma_f32 v12, -v10, v9, v8
	v_fma_f32 v13, -v11, v9, v8
	v_cmp_ge_f32_e64 s[0:1], 0, v12
	v_cndmask_b32_e64 v9, v9, v10, s[0:1]
	v_cmp_lt_f32_e64 s[0:1], 0, v13
	v_cndmask_b32_e64 v9, v9, v11, s[0:1]
	v_mul_f32_e32 v10, 0x37800000, v9
	v_cndmask_b32_e32 v9, v9, v10, vcc
	v_cmp_class_f32_e32 vcc, v8, v5
	v_cndmask_b32_e32 v8, v9, v8, vcc
	v_cmp_nge_f32_e32 vcc, 1.0, v8
	v_cndmask_b32_e32 v3, v7, v3, vcc
	s_cbranch_scc1 .LBB31_86
; %bb.87:
	v_add_u32_e32 v5, 0x7f056016, v4
	v_lshrrev_b32_e32 v6, 19, v5
	v_xor_b32_e32 v5, v5, v6
	v_xor_b32_e32 v5, 0xc761c23c, v5
	v_lshl_add_u32 v5, v5, 5, v5
	v_mov_b32_e32 v7, 0xaccf6200
	v_add_u32_e32 v6, 0xe9f8cc1d, v5
	v_lshl_add_u32 v5, v5, 9, v7
	v_xor_b32_e32 v5, v6, v5
	v_lshlrev_b32_e32 v6, 3, v5
	s_mov_b32 s0, 0xfd7046c5
	v_add3_u32 v5, v5, v6, s0
	v_xor_b32_sdwa v5, v5, v5 dst_sel:DWORD dst_unused:UNUSED_PAD src0_sel:DWORD src1_sel:WORD_1
	v_xor_b32_e32 v6, 0xb55a4f09, v5
	v_mul_hi_u32 v5, v6, 3
	s_brev_b32 s0, -2
	s_movk_i32 s2, 0x2710
	s_mov_b32 s3, 0xbc8f1391
	v_sub_u32_e32 v7, v6, v5
	v_lshrrev_b32_e32 v7, 1, v7
	v_add_u32_e32 v5, v7, v5
	v_lshrrev_b32_e32 v5, 30, v5
	v_mul_lo_u32 v7, v5, s0
	v_mov_b32_e32 v5, 0
	s_mov_b32 s8, 0xbc8f
	s_brev_b32 s9, 12
	v_sub_u32_e32 v6, v6, v7
	v_max_u32_e32 v7, 1, v6
	s_mov_b32 s11, 0xf800000
	v_mov_b32_e32 v6, 0x260
.LBB31_88:                              ; =>This Inner Loop Header: Depth=1
	v_mul_hi_u32 v8, v7, s3
	v_add_f32_e32 v9, 1.0, v5
	s_add_i32 s2, s2, -2
	s_cmp_lg_u32 s2, 0
	v_lshrrev_b32_e32 v8, 15, v8
	v_mul_u32_u24_e32 v10, 0xadc8, v8
	v_sub_u32_e32 v7, v7, v10
	v_mul_lo_u32 v7, v7, s8
	v_mul_u32_u24_e32 v8, 0xd47, v8
	v_xor_b32_e32 v10, 0x7fffffff, v8
	v_sub_u32_e32 v11, 0, v8
	v_cmp_lt_u32_e32 vcc, v7, v8
	v_cndmask_b32_e32 v8, v11, v10, vcc
	v_add_u32_e32 v7, v8, v7
	v_mul_hi_u32 v10, v7, s3
	v_add_u32_e32 v8, -1, v7
	v_cvt_f32_u32_e32 v8, v8
	v_lshrrev_b32_e32 v10, 15, v10
	v_mul_u32_u24_e32 v11, 0xadc8, v10
	v_sub_u32_e32 v7, v7, v11
	v_mul_lo_u32 v7, v7, s8
	v_mul_u32_u24_e32 v10, 0xd47, v10
	v_xor_b32_e32 v11, 0x7fffffff, v10
	v_sub_u32_e32 v12, 0, v10
	v_cmp_lt_u32_e32 vcc, v7, v10
	v_cndmask_b32_e32 v10, v12, v11, vcc
	v_add_u32_e32 v7, v10, v7
	v_mul_hi_u32 v11, v7, s3
	v_add_u32_e32 v10, -1, v7
	v_cvt_f32_u32_e32 v10, v10
	v_fma_f32 v8, v8, s9, 0
	v_lshrrev_b32_e32 v11, 15, v11
	v_mul_u32_u24_e32 v12, 0xadc8, v11
	v_fma_f32 v10, v10, s9, 0
	v_sub_u32_e32 v7, v7, v12
	v_mul_f32_e32 v10, v10, v10
	v_mul_lo_u32 v7, v7, s8
	v_fmac_f32_e32 v10, v8, v8
	v_mul_f32_e32 v8, 0x4f800000, v10
	v_cmp_gt_f32_e32 vcc, s11, v10
	v_mul_u32_u24_e32 v11, 0xd47, v11
	v_cndmask_b32_e32 v8, v10, v8, vcc
	v_xor_b32_e32 v12, 0x7fffffff, v11
	v_sub_u32_e32 v13, 0, v11
	v_sqrt_f32_e32 v10, v8
	v_cmp_lt_u32_e64 s[0:1], v7, v11
	v_cndmask_b32_e64 v11, v13, v12, s[0:1]
	v_add_u32_e32 v7, v11, v7
	v_mul_hi_u32 v12, v7, s3
	v_add_u32_e32 v13, -1, v10
	v_add_u32_e32 v14, 1, v10
	v_fma_f32 v15, -v13, v10, v8
	v_fma_f32 v16, -v14, v10, v8
	v_cmp_ge_f32_e64 s[0:1], 0, v15
	v_cndmask_b32_e64 v10, v10, v13, s[0:1]
	v_cmp_lt_f32_e64 s[0:1], 0, v16
	v_lshrrev_b32_e32 v12, 15, v12
	v_cndmask_b32_e64 v10, v10, v14, s[0:1]
	v_mul_u32_u24_e32 v14, 0xadc8, v12
	v_add_u32_e32 v11, -1, v7
	v_sub_u32_e32 v7, v7, v14
	v_mul_f32_e32 v13, 0x37800000, v10
	v_mul_lo_u32 v7, v7, s8
	v_cndmask_b32_e32 v10, v10, v13, vcc
	v_cmp_class_f32_e32 vcc, v8, v6
	v_cndmask_b32_e32 v8, v10, v8, vcc
	v_mul_u32_u24_e32 v12, 0xd47, v12
	v_cmp_nge_f32_e32 vcc, 1.0, v8
	v_xor_b32_e32 v13, 0x7fffffff, v12
	v_sub_u32_e32 v14, 0, v12
	v_cndmask_b32_e32 v5, v9, v5, vcc
	v_cmp_lt_u32_e32 vcc, v7, v12
	v_cndmask_b32_e32 v9, v14, v13, vcc
	v_add_u32_e32 v7, v9, v7
	v_add_u32_e32 v9, -1, v7
	v_cvt_f32_u32_e32 v9, v9
	v_cvt_f32_u32_e32 v11, v11
	v_add_f32_e32 v8, 1.0, v5
	v_fma_f32 v9, v9, s9, 0
	v_fma_f32 v11, v11, s9, 0
	v_mul_f32_e32 v9, v9, v9
	v_fmac_f32_e32 v9, v11, v11
	v_mul_f32_e32 v10, 0x4f800000, v9
	v_cmp_gt_f32_e32 vcc, s11, v9
	v_cndmask_b32_e32 v9, v9, v10, vcc
	v_sqrt_f32_e32 v10, v9
	v_add_u32_e32 v11, -1, v10
	v_add_u32_e32 v12, 1, v10
	v_fma_f32 v13, -v11, v10, v9
	v_fma_f32 v14, -v12, v10, v9
	v_cmp_ge_f32_e64 s[0:1], 0, v13
	v_cndmask_b32_e64 v10, v10, v11, s[0:1]
	v_cmp_lt_f32_e64 s[0:1], 0, v14
	v_cndmask_b32_e64 v10, v10, v12, s[0:1]
	v_mul_f32_e32 v11, 0x37800000, v10
	v_cndmask_b32_e32 v10, v10, v11, vcc
	v_cmp_class_f32_e32 vcc, v9, v6
	v_cndmask_b32_e32 v9, v10, v9, vcc
	v_cmp_nge_f32_e32 vcc, 1.0, v9
	v_cndmask_b32_e32 v5, v8, v5, vcc
	s_cbranch_scc1 .LBB31_88
; %bb.89:
	v_add_u32_e32 v6, 0x7f156116, v4
	v_lshrrev_b32_e32 v7, 19, v6
	v_xor_b32_e32 v6, v6, v7
	v_xor_b32_e32 v6, 0xc761c23c, v6
	v_lshl_add_u32 v6, v6, 5, v6
	v_mov_b32_e32 v8, 0xaccf6200
	v_add_u32_e32 v7, 0xe9f8cc1d, v6
	v_lshl_add_u32 v6, v6, 9, v8
	v_xor_b32_e32 v6, v7, v6
	v_lshlrev_b32_e32 v7, 3, v6
	s_mov_b32 s0, 0xfd7046c5
	v_add3_u32 v6, v6, v7, s0
	v_xor_b32_sdwa v6, v6, v6 dst_sel:DWORD dst_unused:UNUSED_PAD src0_sel:DWORD src1_sel:WORD_1
	v_xor_b32_e32 v7, 0xb55a4f09, v6
	v_mul_hi_u32 v6, v7, 3
	s_brev_b32 s0, -2
	s_movk_i32 s2, 0x2710
	s_mov_b32 s3, 0xbc8f1391
	v_sub_u32_e32 v8, v7, v6
	v_lshrrev_b32_e32 v8, 1, v8
	v_add_u32_e32 v6, v8, v6
	v_lshrrev_b32_e32 v6, 30, v6
	v_mul_lo_u32 v8, v6, s0
	v_mov_b32_e32 v6, 0
	s_mov_b32 s8, 0xbc8f
	s_brev_b32 s9, 12
	v_sub_u32_e32 v7, v7, v8
	v_max_u32_e32 v8, 1, v7
	s_mov_b32 s11, 0xf800000
	v_mov_b32_e32 v7, 0x260
.LBB31_90:                              ; =>This Inner Loop Header: Depth=1
	v_mul_hi_u32 v9, v8, s3
	v_add_f32_e32 v10, 1.0, v6
	s_add_i32 s2, s2, -2
	s_cmp_lg_u32 s2, 0
	v_lshrrev_b32_e32 v9, 15, v9
	v_mul_u32_u24_e32 v11, 0xadc8, v9
	v_sub_u32_e32 v8, v8, v11
	v_mul_lo_u32 v8, v8, s8
	v_mul_u32_u24_e32 v9, 0xd47, v9
	v_xor_b32_e32 v11, 0x7fffffff, v9
	v_sub_u32_e32 v12, 0, v9
	v_cmp_lt_u32_e32 vcc, v8, v9
	v_cndmask_b32_e32 v9, v12, v11, vcc
	v_add_u32_e32 v8, v9, v8
	v_mul_hi_u32 v11, v8, s3
	v_add_u32_e32 v9, -1, v8
	v_cvt_f32_u32_e32 v9, v9
	v_lshrrev_b32_e32 v11, 15, v11
	v_mul_u32_u24_e32 v12, 0xadc8, v11
	v_sub_u32_e32 v8, v8, v12
	v_mul_lo_u32 v8, v8, s8
	v_mul_u32_u24_e32 v11, 0xd47, v11
	v_xor_b32_e32 v12, 0x7fffffff, v11
	v_sub_u32_e32 v13, 0, v11
	v_cmp_lt_u32_e32 vcc, v8, v11
	v_cndmask_b32_e32 v11, v13, v12, vcc
	v_add_u32_e32 v8, v11, v8
	v_mul_hi_u32 v12, v8, s3
	v_add_u32_e32 v11, -1, v8
	v_cvt_f32_u32_e32 v11, v11
	v_fma_f32 v9, v9, s9, 0
	v_lshrrev_b32_e32 v12, 15, v12
	v_mul_u32_u24_e32 v13, 0xadc8, v12
	v_fma_f32 v11, v11, s9, 0
	v_sub_u32_e32 v8, v8, v13
	v_mul_f32_e32 v11, v11, v11
	v_mul_lo_u32 v8, v8, s8
	v_fmac_f32_e32 v11, v9, v9
	v_mul_f32_e32 v9, 0x4f800000, v11
	v_cmp_gt_f32_e32 vcc, s11, v11
	v_mul_u32_u24_e32 v12, 0xd47, v12
	v_cndmask_b32_e32 v9, v11, v9, vcc
	v_xor_b32_e32 v13, 0x7fffffff, v12
	v_sub_u32_e32 v14, 0, v12
	v_sqrt_f32_e32 v11, v9
	v_cmp_lt_u32_e64 s[0:1], v8, v12
	v_cndmask_b32_e64 v12, v14, v13, s[0:1]
	v_add_u32_e32 v8, v12, v8
	v_mul_hi_u32 v13, v8, s3
	v_add_u32_e32 v14, -1, v11
	v_add_u32_e32 v15, 1, v11
	v_fma_f32 v16, -v14, v11, v9
	v_fma_f32 v17, -v15, v11, v9
	v_cmp_ge_f32_e64 s[0:1], 0, v16
	v_cndmask_b32_e64 v11, v11, v14, s[0:1]
	v_cmp_lt_f32_e64 s[0:1], 0, v17
	v_lshrrev_b32_e32 v13, 15, v13
	v_cndmask_b32_e64 v11, v11, v15, s[0:1]
	v_mul_u32_u24_e32 v15, 0xadc8, v13
	v_add_u32_e32 v12, -1, v8
	v_sub_u32_e32 v8, v8, v15
	v_mul_f32_e32 v14, 0x37800000, v11
	v_mul_lo_u32 v8, v8, s8
	v_cndmask_b32_e32 v11, v11, v14, vcc
	v_cmp_class_f32_e32 vcc, v9, v7
	v_cndmask_b32_e32 v9, v11, v9, vcc
	v_mul_u32_u24_e32 v13, 0xd47, v13
	v_cmp_nge_f32_e32 vcc, 1.0, v9
	v_xor_b32_e32 v14, 0x7fffffff, v13
	v_sub_u32_e32 v15, 0, v13
	v_cndmask_b32_e32 v6, v10, v6, vcc
	v_cmp_lt_u32_e32 vcc, v8, v13
	v_cndmask_b32_e32 v10, v15, v14, vcc
	v_add_u32_e32 v8, v10, v8
	v_add_u32_e32 v10, -1, v8
	v_cvt_f32_u32_e32 v10, v10
	v_cvt_f32_u32_e32 v12, v12
	v_add_f32_e32 v9, 1.0, v6
	v_fma_f32 v10, v10, s9, 0
	v_fma_f32 v12, v12, s9, 0
	v_mul_f32_e32 v10, v10, v10
	v_fmac_f32_e32 v10, v12, v12
	v_mul_f32_e32 v11, 0x4f800000, v10
	v_cmp_gt_f32_e32 vcc, s11, v10
	v_cndmask_b32_e32 v10, v10, v11, vcc
	v_sqrt_f32_e32 v11, v10
	v_add_u32_e32 v12, -1, v11
	v_add_u32_e32 v13, 1, v11
	v_fma_f32 v14, -v12, v11, v10
	v_fma_f32 v15, -v13, v11, v10
	v_cmp_ge_f32_e64 s[0:1], 0, v14
	v_cndmask_b32_e64 v11, v11, v12, s[0:1]
	v_cmp_lt_f32_e64 s[0:1], 0, v15
	v_cndmask_b32_e64 v11, v11, v13, s[0:1]
	v_mul_f32_e32 v12, 0x37800000, v11
	v_cndmask_b32_e32 v11, v11, v12, vcc
	v_cmp_class_f32_e32 vcc, v10, v7
	v_cndmask_b32_e32 v10, v11, v10, vcc
	v_cmp_nge_f32_e32 vcc, 1.0, v10
	v_cndmask_b32_e32 v6, v9, v6, vcc
	s_cbranch_scc1 .LBB31_90
; %bb.91:
	v_add_u32_e32 v7, 0x7f256216, v4
	v_lshrrev_b32_e32 v8, 19, v7
	v_xor_b32_e32 v7, v7, v8
	v_xor_b32_e32 v7, 0xc761c23c, v7
	v_lshl_add_u32 v7, v7, 5, v7
	v_mov_b32_e32 v9, 0xaccf6200
	v_add_u32_e32 v8, 0xe9f8cc1d, v7
	v_lshl_add_u32 v7, v7, 9, v9
	v_xor_b32_e32 v7, v8, v7
	v_lshlrev_b32_e32 v8, 3, v7
	s_mov_b32 s0, 0xfd7046c5
	v_add3_u32 v7, v7, v8, s0
	v_xor_b32_sdwa v7, v7, v7 dst_sel:DWORD dst_unused:UNUSED_PAD src0_sel:DWORD src1_sel:WORD_1
	v_xor_b32_e32 v8, 0xb55a4f09, v7
	v_mul_hi_u32 v7, v8, 3
	s_brev_b32 s0, -2
	s_movk_i32 s2, 0x2710
	s_mov_b32 s3, 0xbc8f1391
	v_sub_u32_e32 v9, v8, v7
	v_lshrrev_b32_e32 v9, 1, v9
	v_add_u32_e32 v7, v9, v7
	v_lshrrev_b32_e32 v7, 30, v7
	v_mul_lo_u32 v9, v7, s0
	v_mov_b32_e32 v7, 0
	s_mov_b32 s8, 0xbc8f
	s_brev_b32 s9, 12
	v_sub_u32_e32 v8, v8, v9
	v_max_u32_e32 v9, 1, v8
	s_mov_b32 s11, 0xf800000
	v_mov_b32_e32 v8, 0x260
.LBB31_92:                              ; =>This Inner Loop Header: Depth=1
	v_mul_hi_u32 v10, v9, s3
	v_add_f32_e32 v11, 1.0, v7
	s_add_i32 s2, s2, -2
	s_cmp_lg_u32 s2, 0
	v_lshrrev_b32_e32 v10, 15, v10
	v_mul_u32_u24_e32 v12, 0xadc8, v10
	v_sub_u32_e32 v9, v9, v12
	v_mul_lo_u32 v9, v9, s8
	v_mul_u32_u24_e32 v10, 0xd47, v10
	v_xor_b32_e32 v12, 0x7fffffff, v10
	v_sub_u32_e32 v13, 0, v10
	v_cmp_lt_u32_e32 vcc, v9, v10
	v_cndmask_b32_e32 v10, v13, v12, vcc
	v_add_u32_e32 v9, v10, v9
	v_mul_hi_u32 v12, v9, s3
	v_add_u32_e32 v10, -1, v9
	v_cvt_f32_u32_e32 v10, v10
	v_lshrrev_b32_e32 v12, 15, v12
	v_mul_u32_u24_e32 v13, 0xadc8, v12
	v_sub_u32_e32 v9, v9, v13
	v_mul_lo_u32 v9, v9, s8
	v_mul_u32_u24_e32 v12, 0xd47, v12
	v_xor_b32_e32 v13, 0x7fffffff, v12
	v_sub_u32_e32 v14, 0, v12
	v_cmp_lt_u32_e32 vcc, v9, v12
	v_cndmask_b32_e32 v12, v14, v13, vcc
	v_add_u32_e32 v9, v12, v9
	v_mul_hi_u32 v13, v9, s3
	v_add_u32_e32 v12, -1, v9
	v_cvt_f32_u32_e32 v12, v12
	v_fma_f32 v10, v10, s9, 0
	v_lshrrev_b32_e32 v13, 15, v13
	v_mul_u32_u24_e32 v14, 0xadc8, v13
	v_fma_f32 v12, v12, s9, 0
	v_sub_u32_e32 v9, v9, v14
	v_mul_f32_e32 v12, v12, v12
	v_mul_lo_u32 v9, v9, s8
	v_fmac_f32_e32 v12, v10, v10
	v_mul_f32_e32 v10, 0x4f800000, v12
	v_cmp_gt_f32_e32 vcc, s11, v12
	v_mul_u32_u24_e32 v13, 0xd47, v13
	v_cndmask_b32_e32 v10, v12, v10, vcc
	v_xor_b32_e32 v14, 0x7fffffff, v13
	v_sub_u32_e32 v15, 0, v13
	v_sqrt_f32_e32 v12, v10
	v_cmp_lt_u32_e64 s[0:1], v9, v13
	v_cndmask_b32_e64 v13, v15, v14, s[0:1]
	v_add_u32_e32 v9, v13, v9
	v_mul_hi_u32 v14, v9, s3
	v_add_u32_e32 v15, -1, v12
	v_add_u32_e32 v16, 1, v12
	v_fma_f32 v17, -v15, v12, v10
	v_fma_f32 v18, -v16, v12, v10
	v_cmp_ge_f32_e64 s[0:1], 0, v17
	v_cndmask_b32_e64 v12, v12, v15, s[0:1]
	v_cmp_lt_f32_e64 s[0:1], 0, v18
	v_lshrrev_b32_e32 v14, 15, v14
	v_cndmask_b32_e64 v12, v12, v16, s[0:1]
	v_mul_u32_u24_e32 v16, 0xadc8, v14
	v_add_u32_e32 v13, -1, v9
	v_sub_u32_e32 v9, v9, v16
	v_mul_f32_e32 v15, 0x37800000, v12
	v_mul_lo_u32 v9, v9, s8
	v_cndmask_b32_e32 v12, v12, v15, vcc
	v_cmp_class_f32_e32 vcc, v10, v8
	v_cndmask_b32_e32 v10, v12, v10, vcc
	v_mul_u32_u24_e32 v14, 0xd47, v14
	v_cmp_nge_f32_e32 vcc, 1.0, v10
	v_xor_b32_e32 v15, 0x7fffffff, v14
	v_sub_u32_e32 v16, 0, v14
	v_cndmask_b32_e32 v7, v11, v7, vcc
	v_cmp_lt_u32_e32 vcc, v9, v14
	v_cndmask_b32_e32 v11, v16, v15, vcc
	v_add_u32_e32 v9, v11, v9
	v_add_u32_e32 v11, -1, v9
	v_cvt_f32_u32_e32 v11, v11
	v_cvt_f32_u32_e32 v13, v13
	v_add_f32_e32 v10, 1.0, v7
	v_fma_f32 v11, v11, s9, 0
	v_fma_f32 v13, v13, s9, 0
	v_mul_f32_e32 v11, v11, v11
	v_fmac_f32_e32 v11, v13, v13
	v_mul_f32_e32 v12, 0x4f800000, v11
	v_cmp_gt_f32_e32 vcc, s11, v11
	v_cndmask_b32_e32 v11, v11, v12, vcc
	v_sqrt_f32_e32 v12, v11
	v_add_u32_e32 v13, -1, v12
	v_add_u32_e32 v14, 1, v12
	v_fma_f32 v15, -v13, v12, v11
	v_fma_f32 v16, -v14, v12, v11
	v_cmp_ge_f32_e64 s[0:1], 0, v15
	v_cndmask_b32_e64 v12, v12, v13, s[0:1]
	v_cmp_lt_f32_e64 s[0:1], 0, v16
	v_cndmask_b32_e64 v12, v12, v14, s[0:1]
	v_mul_f32_e32 v13, 0x37800000, v12
	v_cndmask_b32_e32 v12, v12, v13, vcc
	v_cmp_class_f32_e32 vcc, v11, v8
	v_cndmask_b32_e32 v11, v12, v11, vcc
	v_cmp_nge_f32_e32 vcc, 1.0, v11
	v_cndmask_b32_e32 v7, v10, v7, vcc
	s_cbranch_scc1 .LBB31_92
; %bb.93:
	v_add_u32_e32 v8, 0x7f356316, v4
	v_lshrrev_b32_e32 v9, 19, v8
	v_xor_b32_e32 v8, v8, v9
	v_xor_b32_e32 v8, 0xc761c23c, v8
	v_lshl_add_u32 v8, v8, 5, v8
	v_mov_b32_e32 v10, 0xaccf6200
	v_add_u32_e32 v9, 0xe9f8cc1d, v8
	v_lshl_add_u32 v8, v8, 9, v10
	v_xor_b32_e32 v8, v9, v8
	v_lshlrev_b32_e32 v9, 3, v8
	s_mov_b32 s0, 0xfd7046c5
	v_add3_u32 v8, v8, v9, s0
	v_xor_b32_sdwa v8, v8, v8 dst_sel:DWORD dst_unused:UNUSED_PAD src0_sel:DWORD src1_sel:WORD_1
	v_xor_b32_e32 v9, 0xb55a4f09, v8
	v_mul_hi_u32 v8, v9, 3
	s_brev_b32 s0, -2
	s_movk_i32 s2, 0x2710
	s_mov_b32 s3, 0xbc8f1391
	v_sub_u32_e32 v10, v9, v8
	v_lshrrev_b32_e32 v10, 1, v10
	v_add_u32_e32 v8, v10, v8
	v_lshrrev_b32_e32 v8, 30, v8
	v_mul_lo_u32 v10, v8, s0
	v_mov_b32_e32 v8, 0
	s_mov_b32 s8, 0xbc8f
	s_brev_b32 s9, 12
	v_sub_u32_e32 v9, v9, v10
	v_max_u32_e32 v10, 1, v9
	s_mov_b32 s11, 0xf800000
	v_mov_b32_e32 v9, 0x260
.LBB31_94:                              ; =>This Inner Loop Header: Depth=1
	v_mul_hi_u32 v11, v10, s3
	v_add_f32_e32 v12, 1.0, v8
	s_add_i32 s2, s2, -2
	s_cmp_lg_u32 s2, 0
	v_lshrrev_b32_e32 v11, 15, v11
	v_mul_u32_u24_e32 v13, 0xadc8, v11
	v_sub_u32_e32 v10, v10, v13
	v_mul_lo_u32 v10, v10, s8
	v_mul_u32_u24_e32 v11, 0xd47, v11
	v_xor_b32_e32 v13, 0x7fffffff, v11
	v_sub_u32_e32 v14, 0, v11
	v_cmp_lt_u32_e32 vcc, v10, v11
	v_cndmask_b32_e32 v11, v14, v13, vcc
	v_add_u32_e32 v10, v11, v10
	v_mul_hi_u32 v13, v10, s3
	v_add_u32_e32 v11, -1, v10
	v_cvt_f32_u32_e32 v11, v11
	v_lshrrev_b32_e32 v13, 15, v13
	v_mul_u32_u24_e32 v14, 0xadc8, v13
	v_sub_u32_e32 v10, v10, v14
	v_mul_lo_u32 v10, v10, s8
	v_mul_u32_u24_e32 v13, 0xd47, v13
	v_xor_b32_e32 v14, 0x7fffffff, v13
	v_sub_u32_e32 v15, 0, v13
	v_cmp_lt_u32_e32 vcc, v10, v13
	v_cndmask_b32_e32 v13, v15, v14, vcc
	v_add_u32_e32 v10, v13, v10
	v_mul_hi_u32 v14, v10, s3
	v_add_u32_e32 v13, -1, v10
	v_cvt_f32_u32_e32 v13, v13
	v_fma_f32 v11, v11, s9, 0
	v_lshrrev_b32_e32 v14, 15, v14
	v_mul_u32_u24_e32 v15, 0xadc8, v14
	v_fma_f32 v13, v13, s9, 0
	v_sub_u32_e32 v10, v10, v15
	v_mul_f32_e32 v13, v13, v13
	v_mul_lo_u32 v10, v10, s8
	v_fmac_f32_e32 v13, v11, v11
	v_mul_f32_e32 v11, 0x4f800000, v13
	v_cmp_gt_f32_e32 vcc, s11, v13
	v_mul_u32_u24_e32 v14, 0xd47, v14
	v_cndmask_b32_e32 v11, v13, v11, vcc
	v_xor_b32_e32 v15, 0x7fffffff, v14
	v_sub_u32_e32 v16, 0, v14
	v_sqrt_f32_e32 v13, v11
	v_cmp_lt_u32_e64 s[0:1], v10, v14
	v_cndmask_b32_e64 v14, v16, v15, s[0:1]
	v_add_u32_e32 v10, v14, v10
	v_mul_hi_u32 v15, v10, s3
	v_add_u32_e32 v16, -1, v13
	v_add_u32_e32 v17, 1, v13
	v_fma_f32 v18, -v16, v13, v11
	v_fma_f32 v19, -v17, v13, v11
	v_cmp_ge_f32_e64 s[0:1], 0, v18
	v_cndmask_b32_e64 v13, v13, v16, s[0:1]
	v_cmp_lt_f32_e64 s[0:1], 0, v19
	v_lshrrev_b32_e32 v15, 15, v15
	v_cndmask_b32_e64 v13, v13, v17, s[0:1]
	v_mul_u32_u24_e32 v17, 0xadc8, v15
	v_add_u32_e32 v14, -1, v10
	v_sub_u32_e32 v10, v10, v17
	v_mul_f32_e32 v16, 0x37800000, v13
	v_mul_lo_u32 v10, v10, s8
	v_cndmask_b32_e32 v13, v13, v16, vcc
	v_cmp_class_f32_e32 vcc, v11, v9
	v_cndmask_b32_e32 v11, v13, v11, vcc
	v_mul_u32_u24_e32 v15, 0xd47, v15
	v_cmp_nge_f32_e32 vcc, 1.0, v11
	v_xor_b32_e32 v16, 0x7fffffff, v15
	v_sub_u32_e32 v17, 0, v15
	v_cndmask_b32_e32 v8, v12, v8, vcc
	v_cmp_lt_u32_e32 vcc, v10, v15
	v_cndmask_b32_e32 v12, v17, v16, vcc
	v_add_u32_e32 v10, v12, v10
	v_add_u32_e32 v12, -1, v10
	v_cvt_f32_u32_e32 v12, v12
	v_cvt_f32_u32_e32 v14, v14
	v_add_f32_e32 v11, 1.0, v8
	v_fma_f32 v12, v12, s9, 0
	v_fma_f32 v14, v14, s9, 0
	v_mul_f32_e32 v12, v12, v12
	v_fmac_f32_e32 v12, v14, v14
	v_mul_f32_e32 v13, 0x4f800000, v12
	v_cmp_gt_f32_e32 vcc, s11, v12
	v_cndmask_b32_e32 v12, v12, v13, vcc
	v_sqrt_f32_e32 v13, v12
	v_add_u32_e32 v14, -1, v13
	v_add_u32_e32 v15, 1, v13
	v_fma_f32 v16, -v14, v13, v12
	v_fma_f32 v17, -v15, v13, v12
	v_cmp_ge_f32_e64 s[0:1], 0, v16
	v_cndmask_b32_e64 v13, v13, v14, s[0:1]
	v_cmp_lt_f32_e64 s[0:1], 0, v17
	v_cndmask_b32_e64 v13, v13, v15, s[0:1]
	v_mul_f32_e32 v14, 0x37800000, v13
	v_cndmask_b32_e32 v13, v13, v14, vcc
	v_cmp_class_f32_e32 vcc, v12, v9
	v_cndmask_b32_e32 v12, v13, v12, vcc
	v_cmp_nge_f32_e32 vcc, 1.0, v12
	v_cndmask_b32_e32 v8, v11, v8, vcc
	s_cbranch_scc1 .LBB31_94
; %bb.95:
	v_add_u32_e32 v9, 0x7f456416, v4
	v_lshrrev_b32_e32 v10, 19, v9
	v_xor_b32_e32 v9, v9, v10
	v_xor_b32_e32 v9, 0xc761c23c, v9
	v_lshl_add_u32 v9, v9, 5, v9
	v_mov_b32_e32 v11, 0xaccf6200
	v_add_u32_e32 v10, 0xe9f8cc1d, v9
	v_lshl_add_u32 v9, v9, 9, v11
	v_xor_b32_e32 v9, v10, v9
	v_lshlrev_b32_e32 v10, 3, v9
	s_mov_b32 s0, 0xfd7046c5
	v_add3_u32 v9, v9, v10, s0
	v_xor_b32_sdwa v9, v9, v9 dst_sel:DWORD dst_unused:UNUSED_PAD src0_sel:DWORD src1_sel:WORD_1
	v_xor_b32_e32 v10, 0xb55a4f09, v9
	v_mul_hi_u32 v9, v10, 3
	s_brev_b32 s0, -2
	s_movk_i32 s2, 0x2710
	s_mov_b32 s3, 0xbc8f1391
	v_sub_u32_e32 v11, v10, v9
	v_lshrrev_b32_e32 v11, 1, v11
	v_add_u32_e32 v9, v11, v9
	v_lshrrev_b32_e32 v9, 30, v9
	v_mul_lo_u32 v11, v9, s0
	v_mov_b32_e32 v9, 0
	s_mov_b32 s8, 0xbc8f
	s_brev_b32 s9, 12
	v_sub_u32_e32 v10, v10, v11
	v_max_u32_e32 v11, 1, v10
	s_mov_b32 s11, 0xf800000
	v_mov_b32_e32 v10, 0x260
.LBB31_96:                              ; =>This Inner Loop Header: Depth=1
	v_mul_hi_u32 v12, v11, s3
	v_add_f32_e32 v13, 1.0, v9
	s_add_i32 s2, s2, -2
	s_cmp_lg_u32 s2, 0
	v_lshrrev_b32_e32 v12, 15, v12
	v_mul_u32_u24_e32 v14, 0xadc8, v12
	v_sub_u32_e32 v11, v11, v14
	v_mul_lo_u32 v11, v11, s8
	v_mul_u32_u24_e32 v12, 0xd47, v12
	v_xor_b32_e32 v14, 0x7fffffff, v12
	v_sub_u32_e32 v15, 0, v12
	v_cmp_lt_u32_e32 vcc, v11, v12
	v_cndmask_b32_e32 v12, v15, v14, vcc
	v_add_u32_e32 v11, v12, v11
	v_mul_hi_u32 v14, v11, s3
	v_add_u32_e32 v12, -1, v11
	v_cvt_f32_u32_e32 v12, v12
	v_lshrrev_b32_e32 v14, 15, v14
	v_mul_u32_u24_e32 v15, 0xadc8, v14
	v_sub_u32_e32 v11, v11, v15
	v_mul_lo_u32 v11, v11, s8
	v_mul_u32_u24_e32 v14, 0xd47, v14
	v_xor_b32_e32 v15, 0x7fffffff, v14
	v_sub_u32_e32 v16, 0, v14
	v_cmp_lt_u32_e32 vcc, v11, v14
	v_cndmask_b32_e32 v14, v16, v15, vcc
	v_add_u32_e32 v11, v14, v11
	v_mul_hi_u32 v15, v11, s3
	v_add_u32_e32 v14, -1, v11
	v_cvt_f32_u32_e32 v14, v14
	v_fma_f32 v12, v12, s9, 0
	v_lshrrev_b32_e32 v15, 15, v15
	v_mul_u32_u24_e32 v16, 0xadc8, v15
	v_fma_f32 v14, v14, s9, 0
	v_sub_u32_e32 v11, v11, v16
	v_mul_f32_e32 v14, v14, v14
	v_mul_lo_u32 v11, v11, s8
	v_fmac_f32_e32 v14, v12, v12
	v_mul_f32_e32 v12, 0x4f800000, v14
	v_cmp_gt_f32_e32 vcc, s11, v14
	v_mul_u32_u24_e32 v15, 0xd47, v15
	v_cndmask_b32_e32 v12, v14, v12, vcc
	v_xor_b32_e32 v16, 0x7fffffff, v15
	v_sub_u32_e32 v17, 0, v15
	v_sqrt_f32_e32 v14, v12
	v_cmp_lt_u32_e64 s[0:1], v11, v15
	v_cndmask_b32_e64 v15, v17, v16, s[0:1]
	v_add_u32_e32 v11, v15, v11
	v_mul_hi_u32 v16, v11, s3
	v_add_u32_e32 v17, -1, v14
	v_add_u32_e32 v18, 1, v14
	v_fma_f32 v19, -v17, v14, v12
	v_fma_f32 v20, -v18, v14, v12
	v_cmp_ge_f32_e64 s[0:1], 0, v19
	v_cndmask_b32_e64 v14, v14, v17, s[0:1]
	v_cmp_lt_f32_e64 s[0:1], 0, v20
	v_lshrrev_b32_e32 v16, 15, v16
	v_cndmask_b32_e64 v14, v14, v18, s[0:1]
	v_mul_u32_u24_e32 v18, 0xadc8, v16
	v_add_u32_e32 v15, -1, v11
	v_sub_u32_e32 v11, v11, v18
	v_mul_f32_e32 v17, 0x37800000, v14
	v_mul_lo_u32 v11, v11, s8
	v_cndmask_b32_e32 v14, v14, v17, vcc
	v_cmp_class_f32_e32 vcc, v12, v10
	v_cndmask_b32_e32 v12, v14, v12, vcc
	v_mul_u32_u24_e32 v16, 0xd47, v16
	v_cmp_nge_f32_e32 vcc, 1.0, v12
	v_xor_b32_e32 v17, 0x7fffffff, v16
	v_sub_u32_e32 v18, 0, v16
	v_cndmask_b32_e32 v9, v13, v9, vcc
	v_cmp_lt_u32_e32 vcc, v11, v16
	v_cndmask_b32_e32 v13, v18, v17, vcc
	v_add_u32_e32 v11, v13, v11
	v_add_u32_e32 v13, -1, v11
	v_cvt_f32_u32_e32 v13, v13
	v_cvt_f32_u32_e32 v15, v15
	v_add_f32_e32 v12, 1.0, v9
	v_fma_f32 v13, v13, s9, 0
	v_fma_f32 v15, v15, s9, 0
	v_mul_f32_e32 v13, v13, v13
	v_fmac_f32_e32 v13, v15, v15
	v_mul_f32_e32 v14, 0x4f800000, v13
	v_cmp_gt_f32_e32 vcc, s11, v13
	v_cndmask_b32_e32 v13, v13, v14, vcc
	v_sqrt_f32_e32 v14, v13
	v_add_u32_e32 v15, -1, v14
	v_add_u32_e32 v16, 1, v14
	v_fma_f32 v17, -v15, v14, v13
	v_fma_f32 v18, -v16, v14, v13
	v_cmp_ge_f32_e64 s[0:1], 0, v17
	v_cndmask_b32_e64 v14, v14, v15, s[0:1]
	v_cmp_lt_f32_e64 s[0:1], 0, v18
	v_cndmask_b32_e64 v14, v14, v16, s[0:1]
	v_mul_f32_e32 v15, 0x37800000, v14
	v_cndmask_b32_e32 v14, v14, v15, vcc
	v_cmp_class_f32_e32 vcc, v13, v10
	v_cndmask_b32_e32 v13, v14, v13, vcc
	v_cmp_nge_f32_e32 vcc, 1.0, v13
	v_cndmask_b32_e32 v9, v12, v9, vcc
	s_cbranch_scc1 .LBB31_96
; %bb.97:
	v_add_u32_e32 v10, 0x7f556516, v4
	v_lshrrev_b32_e32 v11, 19, v10
	v_xor_b32_e32 v10, v10, v11
	v_xor_b32_e32 v10, 0xc761c23c, v10
	v_lshl_add_u32 v10, v10, 5, v10
	v_mov_b32_e32 v12, 0xaccf6200
	v_add_u32_e32 v11, 0xe9f8cc1d, v10
	v_lshl_add_u32 v10, v10, 9, v12
	v_xor_b32_e32 v10, v11, v10
	v_lshlrev_b32_e32 v11, 3, v10
	s_mov_b32 s0, 0xfd7046c5
	v_add3_u32 v10, v10, v11, s0
	v_xor_b32_sdwa v10, v10, v10 dst_sel:DWORD dst_unused:UNUSED_PAD src0_sel:DWORD src1_sel:WORD_1
	v_xor_b32_e32 v11, 0xb55a4f09, v10
	v_mul_hi_u32 v10, v11, 3
	s_brev_b32 s0, -2
	s_movk_i32 s2, 0x2710
	s_mov_b32 s3, 0xbc8f1391
	v_sub_u32_e32 v12, v11, v10
	v_lshrrev_b32_e32 v12, 1, v12
	v_add_u32_e32 v10, v12, v10
	v_lshrrev_b32_e32 v10, 30, v10
	v_mul_lo_u32 v12, v10, s0
	v_mov_b32_e32 v10, 0
	s_mov_b32 s8, 0xbc8f
	s_brev_b32 s9, 12
	v_sub_u32_e32 v11, v11, v12
	v_max_u32_e32 v12, 1, v11
	s_mov_b32 s11, 0xf800000
	v_mov_b32_e32 v11, 0x260
.LBB31_98:                              ; =>This Inner Loop Header: Depth=1
	v_mul_hi_u32 v13, v12, s3
	v_add_f32_e32 v14, 1.0, v10
	s_add_i32 s2, s2, -2
	s_cmp_lg_u32 s2, 0
	v_lshrrev_b32_e32 v13, 15, v13
	v_mul_u32_u24_e32 v15, 0xadc8, v13
	v_sub_u32_e32 v12, v12, v15
	v_mul_lo_u32 v12, v12, s8
	v_mul_u32_u24_e32 v13, 0xd47, v13
	v_xor_b32_e32 v15, 0x7fffffff, v13
	v_sub_u32_e32 v16, 0, v13
	v_cmp_lt_u32_e32 vcc, v12, v13
	v_cndmask_b32_e32 v13, v16, v15, vcc
	v_add_u32_e32 v12, v13, v12
	v_mul_hi_u32 v15, v12, s3
	v_add_u32_e32 v13, -1, v12
	v_cvt_f32_u32_e32 v13, v13
	v_lshrrev_b32_e32 v15, 15, v15
	v_mul_u32_u24_e32 v16, 0xadc8, v15
	v_sub_u32_e32 v12, v12, v16
	v_mul_lo_u32 v12, v12, s8
	v_mul_u32_u24_e32 v15, 0xd47, v15
	v_xor_b32_e32 v16, 0x7fffffff, v15
	v_sub_u32_e32 v17, 0, v15
	v_cmp_lt_u32_e32 vcc, v12, v15
	v_cndmask_b32_e32 v15, v17, v16, vcc
	v_add_u32_e32 v12, v15, v12
	v_mul_hi_u32 v16, v12, s3
	v_add_u32_e32 v15, -1, v12
	v_cvt_f32_u32_e32 v15, v15
	v_fma_f32 v13, v13, s9, 0
	v_lshrrev_b32_e32 v16, 15, v16
	v_mul_u32_u24_e32 v17, 0xadc8, v16
	v_fma_f32 v15, v15, s9, 0
	v_sub_u32_e32 v12, v12, v17
	v_mul_f32_e32 v15, v15, v15
	v_mul_lo_u32 v12, v12, s8
	v_fmac_f32_e32 v15, v13, v13
	v_mul_f32_e32 v13, 0x4f800000, v15
	v_cmp_gt_f32_e32 vcc, s11, v15
	v_mul_u32_u24_e32 v16, 0xd47, v16
	v_cndmask_b32_e32 v13, v15, v13, vcc
	v_xor_b32_e32 v17, 0x7fffffff, v16
	v_sub_u32_e32 v18, 0, v16
	v_sqrt_f32_e32 v15, v13
	v_cmp_lt_u32_e64 s[0:1], v12, v16
	v_cndmask_b32_e64 v16, v18, v17, s[0:1]
	v_add_u32_e32 v12, v16, v12
	v_mul_hi_u32 v17, v12, s3
	v_add_u32_e32 v18, -1, v15
	v_add_u32_e32 v19, 1, v15
	v_fma_f32 v20, -v18, v15, v13
	v_fma_f32 v21, -v19, v15, v13
	v_cmp_ge_f32_e64 s[0:1], 0, v20
	v_cndmask_b32_e64 v15, v15, v18, s[0:1]
	v_cmp_lt_f32_e64 s[0:1], 0, v21
	v_lshrrev_b32_e32 v17, 15, v17
	v_cndmask_b32_e64 v15, v15, v19, s[0:1]
	v_mul_u32_u24_e32 v19, 0xadc8, v17
	v_add_u32_e32 v16, -1, v12
	v_sub_u32_e32 v12, v12, v19
	v_mul_f32_e32 v18, 0x37800000, v15
	v_mul_lo_u32 v12, v12, s8
	v_cndmask_b32_e32 v15, v15, v18, vcc
	v_cmp_class_f32_e32 vcc, v13, v11
	v_cndmask_b32_e32 v13, v15, v13, vcc
	v_mul_u32_u24_e32 v17, 0xd47, v17
	v_cmp_nge_f32_e32 vcc, 1.0, v13
	v_xor_b32_e32 v18, 0x7fffffff, v17
	v_sub_u32_e32 v19, 0, v17
	v_cndmask_b32_e32 v10, v14, v10, vcc
	v_cmp_lt_u32_e32 vcc, v12, v17
	v_cndmask_b32_e32 v14, v19, v18, vcc
	v_add_u32_e32 v12, v14, v12
	v_add_u32_e32 v14, -1, v12
	v_cvt_f32_u32_e32 v14, v14
	v_cvt_f32_u32_e32 v16, v16
	v_add_f32_e32 v13, 1.0, v10
	v_fma_f32 v14, v14, s9, 0
	v_fma_f32 v16, v16, s9, 0
	v_mul_f32_e32 v14, v14, v14
	v_fmac_f32_e32 v14, v16, v16
	v_mul_f32_e32 v15, 0x4f800000, v14
	v_cmp_gt_f32_e32 vcc, s11, v14
	v_cndmask_b32_e32 v14, v14, v15, vcc
	v_sqrt_f32_e32 v15, v14
	v_add_u32_e32 v16, -1, v15
	v_add_u32_e32 v17, 1, v15
	v_fma_f32 v18, -v16, v15, v14
	v_fma_f32 v19, -v17, v15, v14
	v_cmp_ge_f32_e64 s[0:1], 0, v18
	v_cndmask_b32_e64 v15, v15, v16, s[0:1]
	v_cmp_lt_f32_e64 s[0:1], 0, v19
	v_cndmask_b32_e64 v15, v15, v17, s[0:1]
	v_mul_f32_e32 v16, 0x37800000, v15
	v_cndmask_b32_e32 v15, v15, v16, vcc
	v_cmp_class_f32_e32 vcc, v14, v11
	v_cndmask_b32_e32 v14, v15, v14, vcc
	v_cmp_nge_f32_e32 vcc, 1.0, v14
	v_cndmask_b32_e32 v10, v13, v10, vcc
	s_cbranch_scc1 .LBB31_98
; %bb.99:
	v_add_u32_e32 v11, 0x7f656616, v4
	v_lshrrev_b32_e32 v12, 19, v11
	v_xor_b32_e32 v11, v11, v12
	v_xor_b32_e32 v11, 0xc761c23c, v11
	v_lshl_add_u32 v11, v11, 5, v11
	v_mov_b32_e32 v13, 0xaccf6200
	v_add_u32_e32 v12, 0xe9f8cc1d, v11
	v_lshl_add_u32 v11, v11, 9, v13
	v_xor_b32_e32 v11, v12, v11
	v_lshlrev_b32_e32 v12, 3, v11
	s_mov_b32 s0, 0xfd7046c5
	v_add3_u32 v11, v11, v12, s0
	v_xor_b32_sdwa v11, v11, v11 dst_sel:DWORD dst_unused:UNUSED_PAD src0_sel:DWORD src1_sel:WORD_1
	v_xor_b32_e32 v12, 0xb55a4f09, v11
	v_mul_hi_u32 v11, v12, 3
	s_brev_b32 s0, -2
	s_movk_i32 s2, 0x2710
	s_mov_b32 s3, 0xbc8f1391
	v_sub_u32_e32 v13, v12, v11
	v_lshrrev_b32_e32 v13, 1, v13
	v_add_u32_e32 v11, v13, v11
	v_lshrrev_b32_e32 v11, 30, v11
	v_mul_lo_u32 v13, v11, s0
	v_mov_b32_e32 v11, 0
	s_mov_b32 s8, 0xbc8f
	s_brev_b32 s9, 12
	v_sub_u32_e32 v12, v12, v13
	v_max_u32_e32 v13, 1, v12
	s_mov_b32 s11, 0xf800000
	v_mov_b32_e32 v12, 0x260
.LBB31_100:                             ; =>This Inner Loop Header: Depth=1
	v_mul_hi_u32 v14, v13, s3
	v_add_f32_e32 v15, 1.0, v11
	s_add_i32 s2, s2, -2
	s_cmp_lg_u32 s2, 0
	v_lshrrev_b32_e32 v14, 15, v14
	v_mul_u32_u24_e32 v16, 0xadc8, v14
	v_sub_u32_e32 v13, v13, v16
	v_mul_lo_u32 v13, v13, s8
	v_mul_u32_u24_e32 v14, 0xd47, v14
	v_xor_b32_e32 v16, 0x7fffffff, v14
	v_sub_u32_e32 v17, 0, v14
	v_cmp_lt_u32_e32 vcc, v13, v14
	v_cndmask_b32_e32 v14, v17, v16, vcc
	v_add_u32_e32 v13, v14, v13
	v_mul_hi_u32 v16, v13, s3
	v_add_u32_e32 v14, -1, v13
	v_cvt_f32_u32_e32 v14, v14
	v_lshrrev_b32_e32 v16, 15, v16
	v_mul_u32_u24_e32 v17, 0xadc8, v16
	v_sub_u32_e32 v13, v13, v17
	v_mul_lo_u32 v13, v13, s8
	v_mul_u32_u24_e32 v16, 0xd47, v16
	v_xor_b32_e32 v17, 0x7fffffff, v16
	v_sub_u32_e32 v18, 0, v16
	v_cmp_lt_u32_e32 vcc, v13, v16
	v_cndmask_b32_e32 v16, v18, v17, vcc
	v_add_u32_e32 v13, v16, v13
	v_mul_hi_u32 v17, v13, s3
	v_add_u32_e32 v16, -1, v13
	v_cvt_f32_u32_e32 v16, v16
	v_fma_f32 v14, v14, s9, 0
	v_lshrrev_b32_e32 v17, 15, v17
	v_mul_u32_u24_e32 v18, 0xadc8, v17
	v_fma_f32 v16, v16, s9, 0
	v_sub_u32_e32 v13, v13, v18
	v_mul_f32_e32 v16, v16, v16
	v_mul_lo_u32 v13, v13, s8
	v_fmac_f32_e32 v16, v14, v14
	v_mul_f32_e32 v14, 0x4f800000, v16
	v_cmp_gt_f32_e32 vcc, s11, v16
	v_mul_u32_u24_e32 v17, 0xd47, v17
	v_cndmask_b32_e32 v14, v16, v14, vcc
	v_xor_b32_e32 v18, 0x7fffffff, v17
	v_sub_u32_e32 v19, 0, v17
	v_sqrt_f32_e32 v16, v14
	v_cmp_lt_u32_e64 s[0:1], v13, v17
	v_cndmask_b32_e64 v17, v19, v18, s[0:1]
	v_add_u32_e32 v13, v17, v13
	v_mul_hi_u32 v18, v13, s3
	v_add_u32_e32 v19, -1, v16
	v_add_u32_e32 v20, 1, v16
	v_fma_f32 v21, -v19, v16, v14
	v_fma_f32 v22, -v20, v16, v14
	v_cmp_ge_f32_e64 s[0:1], 0, v21
	v_cndmask_b32_e64 v16, v16, v19, s[0:1]
	v_cmp_lt_f32_e64 s[0:1], 0, v22
	v_lshrrev_b32_e32 v18, 15, v18
	v_cndmask_b32_e64 v16, v16, v20, s[0:1]
	v_mul_u32_u24_e32 v20, 0xadc8, v18
	v_add_u32_e32 v17, -1, v13
	v_sub_u32_e32 v13, v13, v20
	v_mul_f32_e32 v19, 0x37800000, v16
	v_mul_lo_u32 v13, v13, s8
	v_cndmask_b32_e32 v16, v16, v19, vcc
	v_cmp_class_f32_e32 vcc, v14, v12
	v_cndmask_b32_e32 v14, v16, v14, vcc
	v_mul_u32_u24_e32 v18, 0xd47, v18
	v_cmp_nge_f32_e32 vcc, 1.0, v14
	v_xor_b32_e32 v19, 0x7fffffff, v18
	v_sub_u32_e32 v20, 0, v18
	v_cndmask_b32_e32 v11, v15, v11, vcc
	v_cmp_lt_u32_e32 vcc, v13, v18
	v_cndmask_b32_e32 v15, v20, v19, vcc
	v_add_u32_e32 v13, v15, v13
	v_add_u32_e32 v15, -1, v13
	v_cvt_f32_u32_e32 v15, v15
	v_cvt_f32_u32_e32 v17, v17
	v_add_f32_e32 v14, 1.0, v11
	v_fma_f32 v15, v15, s9, 0
	v_fma_f32 v17, v17, s9, 0
	v_mul_f32_e32 v15, v15, v15
	v_fmac_f32_e32 v15, v17, v17
	v_mul_f32_e32 v16, 0x4f800000, v15
	v_cmp_gt_f32_e32 vcc, s11, v15
	v_cndmask_b32_e32 v15, v15, v16, vcc
	v_sqrt_f32_e32 v16, v15
	v_add_u32_e32 v17, -1, v16
	v_add_u32_e32 v18, 1, v16
	v_fma_f32 v19, -v17, v16, v15
	v_fma_f32 v20, -v18, v16, v15
	v_cmp_ge_f32_e64 s[0:1], 0, v19
	v_cndmask_b32_e64 v16, v16, v17, s[0:1]
	v_cmp_lt_f32_e64 s[0:1], 0, v20
	v_cndmask_b32_e64 v16, v16, v18, s[0:1]
	v_mul_f32_e32 v17, 0x37800000, v16
	v_cndmask_b32_e32 v16, v16, v17, vcc
	v_cmp_class_f32_e32 vcc, v15, v12
	v_cndmask_b32_e32 v15, v16, v15, vcc
	v_cmp_nge_f32_e32 vcc, 1.0, v15
	v_cndmask_b32_e32 v11, v14, v11, vcc
	s_cbranch_scc1 .LBB31_100
; %bb.101:
	v_add_u32_e32 v12, 0x7f756716, v4
	v_lshrrev_b32_e32 v13, 19, v12
	v_xor_b32_e32 v12, v12, v13
	v_xor_b32_e32 v12, 0xc761c23c, v12
	v_lshl_add_u32 v12, v12, 5, v12
	v_mov_b32_e32 v14, 0xaccf6200
	v_add_u32_e32 v13, 0xe9f8cc1d, v12
	v_lshl_add_u32 v12, v12, 9, v14
	v_xor_b32_e32 v12, v13, v12
	v_lshlrev_b32_e32 v13, 3, v12
	s_mov_b32 s0, 0xfd7046c5
	v_add3_u32 v12, v12, v13, s0
	v_xor_b32_sdwa v12, v12, v12 dst_sel:DWORD dst_unused:UNUSED_PAD src0_sel:DWORD src1_sel:WORD_1
	v_xor_b32_e32 v13, 0xb55a4f09, v12
	v_mul_hi_u32 v12, v13, 3
	s_brev_b32 s0, -2
	s_movk_i32 s2, 0x2710
	s_mov_b32 s3, 0xbc8f1391
	v_sub_u32_e32 v14, v13, v12
	v_lshrrev_b32_e32 v14, 1, v14
	v_add_u32_e32 v12, v14, v12
	v_lshrrev_b32_e32 v12, 30, v12
	v_mul_lo_u32 v14, v12, s0
	v_mov_b32_e32 v12, 0
	s_mov_b32 s8, 0xbc8f
	s_brev_b32 s9, 12
	v_sub_u32_e32 v13, v13, v14
	v_max_u32_e32 v14, 1, v13
	s_mov_b32 s11, 0xf800000
	v_mov_b32_e32 v13, 0x260
.LBB31_102:                             ; =>This Inner Loop Header: Depth=1
	v_mul_hi_u32 v15, v14, s3
	v_add_f32_e32 v16, 1.0, v12
	s_add_i32 s2, s2, -2
	s_cmp_lg_u32 s2, 0
	v_lshrrev_b32_e32 v15, 15, v15
	v_mul_u32_u24_e32 v17, 0xadc8, v15
	v_sub_u32_e32 v14, v14, v17
	v_mul_lo_u32 v14, v14, s8
	v_mul_u32_u24_e32 v15, 0xd47, v15
	v_xor_b32_e32 v17, 0x7fffffff, v15
	v_sub_u32_e32 v18, 0, v15
	v_cmp_lt_u32_e32 vcc, v14, v15
	v_cndmask_b32_e32 v15, v18, v17, vcc
	v_add_u32_e32 v14, v15, v14
	v_mul_hi_u32 v17, v14, s3
	v_add_u32_e32 v15, -1, v14
	v_cvt_f32_u32_e32 v15, v15
	v_lshrrev_b32_e32 v17, 15, v17
	v_mul_u32_u24_e32 v18, 0xadc8, v17
	v_sub_u32_e32 v14, v14, v18
	v_mul_lo_u32 v14, v14, s8
	v_mul_u32_u24_e32 v17, 0xd47, v17
	v_xor_b32_e32 v18, 0x7fffffff, v17
	v_sub_u32_e32 v19, 0, v17
	v_cmp_lt_u32_e32 vcc, v14, v17
	v_cndmask_b32_e32 v17, v19, v18, vcc
	v_add_u32_e32 v14, v17, v14
	v_mul_hi_u32 v18, v14, s3
	v_add_u32_e32 v17, -1, v14
	v_cvt_f32_u32_e32 v17, v17
	v_fma_f32 v15, v15, s9, 0
	v_lshrrev_b32_e32 v18, 15, v18
	v_mul_u32_u24_e32 v19, 0xadc8, v18
	v_fma_f32 v17, v17, s9, 0
	v_sub_u32_e32 v14, v14, v19
	v_mul_f32_e32 v17, v17, v17
	v_mul_lo_u32 v14, v14, s8
	v_fmac_f32_e32 v17, v15, v15
	v_mul_f32_e32 v15, 0x4f800000, v17
	v_cmp_gt_f32_e32 vcc, s11, v17
	v_mul_u32_u24_e32 v18, 0xd47, v18
	v_cndmask_b32_e32 v15, v17, v15, vcc
	v_xor_b32_e32 v19, 0x7fffffff, v18
	v_sub_u32_e32 v20, 0, v18
	v_sqrt_f32_e32 v17, v15
	v_cmp_lt_u32_e64 s[0:1], v14, v18
	v_cndmask_b32_e64 v18, v20, v19, s[0:1]
	v_add_u32_e32 v14, v18, v14
	v_mul_hi_u32 v19, v14, s3
	v_add_u32_e32 v20, -1, v17
	v_add_u32_e32 v21, 1, v17
	v_fma_f32 v22, -v20, v17, v15
	v_fma_f32 v23, -v21, v17, v15
	v_cmp_ge_f32_e64 s[0:1], 0, v22
	v_cndmask_b32_e64 v17, v17, v20, s[0:1]
	v_cmp_lt_f32_e64 s[0:1], 0, v23
	v_lshrrev_b32_e32 v19, 15, v19
	v_cndmask_b32_e64 v17, v17, v21, s[0:1]
	v_mul_u32_u24_e32 v21, 0xadc8, v19
	v_add_u32_e32 v18, -1, v14
	v_sub_u32_e32 v14, v14, v21
	v_mul_f32_e32 v20, 0x37800000, v17
	v_mul_lo_u32 v14, v14, s8
	v_cndmask_b32_e32 v17, v17, v20, vcc
	v_cmp_class_f32_e32 vcc, v15, v13
	v_cndmask_b32_e32 v15, v17, v15, vcc
	v_mul_u32_u24_e32 v19, 0xd47, v19
	v_cmp_nge_f32_e32 vcc, 1.0, v15
	v_xor_b32_e32 v20, 0x7fffffff, v19
	v_sub_u32_e32 v21, 0, v19
	v_cndmask_b32_e32 v12, v16, v12, vcc
	v_cmp_lt_u32_e32 vcc, v14, v19
	v_cndmask_b32_e32 v16, v21, v20, vcc
	v_add_u32_e32 v14, v16, v14
	v_add_u32_e32 v16, -1, v14
	v_cvt_f32_u32_e32 v16, v16
	v_cvt_f32_u32_e32 v18, v18
	v_add_f32_e32 v15, 1.0, v12
	v_fma_f32 v16, v16, s9, 0
	v_fma_f32 v18, v18, s9, 0
	v_mul_f32_e32 v16, v16, v16
	v_fmac_f32_e32 v16, v18, v18
	v_mul_f32_e32 v17, 0x4f800000, v16
	v_cmp_gt_f32_e32 vcc, s11, v16
	v_cndmask_b32_e32 v16, v16, v17, vcc
	v_sqrt_f32_e32 v17, v16
	v_add_u32_e32 v18, -1, v17
	v_add_u32_e32 v19, 1, v17
	v_fma_f32 v20, -v18, v17, v16
	v_fma_f32 v21, -v19, v17, v16
	v_cmp_ge_f32_e64 s[0:1], 0, v20
	v_cndmask_b32_e64 v17, v17, v18, s[0:1]
	v_cmp_lt_f32_e64 s[0:1], 0, v21
	v_cndmask_b32_e64 v17, v17, v19, s[0:1]
	v_mul_f32_e32 v18, 0x37800000, v17
	v_cndmask_b32_e32 v17, v17, v18, vcc
	v_cmp_class_f32_e32 vcc, v16, v13
	v_cndmask_b32_e32 v16, v17, v16, vcc
	v_cmp_nge_f32_e32 vcc, 1.0, v16
	v_cndmask_b32_e32 v12, v15, v12, vcc
	s_cbranch_scc1 .LBB31_102
; %bb.103:
	v_add_u32_e32 v13, 0x7f856816, v4
	v_lshrrev_b32_e32 v14, 19, v13
	v_xor_b32_e32 v13, v13, v14
	v_xor_b32_e32 v13, 0xc761c23c, v13
	v_lshl_add_u32 v13, v13, 5, v13
	v_mov_b32_e32 v15, 0xaccf6200
	v_add_u32_e32 v14, 0xe9f8cc1d, v13
	v_lshl_add_u32 v13, v13, 9, v15
	v_xor_b32_e32 v13, v14, v13
	v_lshlrev_b32_e32 v14, 3, v13
	s_mov_b32 s0, 0xfd7046c5
	v_add3_u32 v13, v13, v14, s0
	v_xor_b32_sdwa v13, v13, v13 dst_sel:DWORD dst_unused:UNUSED_PAD src0_sel:DWORD src1_sel:WORD_1
	v_xor_b32_e32 v14, 0xb55a4f09, v13
	v_mul_hi_u32 v13, v14, 3
	s_brev_b32 s0, -2
	s_movk_i32 s2, 0x2710
	s_mov_b32 s3, 0xbc8f1391
	v_sub_u32_e32 v15, v14, v13
	v_lshrrev_b32_e32 v15, 1, v15
	v_add_u32_e32 v13, v15, v13
	v_lshrrev_b32_e32 v13, 30, v13
	v_mul_lo_u32 v15, v13, s0
	v_mov_b32_e32 v13, 0
	s_mov_b32 s8, 0xbc8f
	s_brev_b32 s9, 12
	v_sub_u32_e32 v14, v14, v15
	v_max_u32_e32 v15, 1, v14
	s_mov_b32 s11, 0xf800000
	v_mov_b32_e32 v14, 0x260
.LBB31_104:                             ; =>This Inner Loop Header: Depth=1
	v_mul_hi_u32 v16, v15, s3
	s_add_i32 s2, s2, -2
	s_cmp_lg_u32 s2, 0
	v_lshrrev_b32_e32 v16, 15, v16
	v_mul_u32_u24_e32 v17, 0xadc8, v16
	v_sub_u32_e32 v15, v15, v17
	v_mul_lo_u32 v15, v15, s8
	v_mul_u32_u24_e32 v16, 0xd47, v16
	v_xor_b32_e32 v17, 0x7fffffff, v16
	v_cmp_lt_u32_e32 vcc, v15, v16
	v_sub_u32_e32 v16, 0, v16
	v_cndmask_b32_e32 v16, v16, v17, vcc
	v_add_u32_e32 v15, v16, v15
	v_mul_hi_u32 v17, v15, s3
	v_add_u32_e32 v16, -1, v15
	v_cvt_f32_u32_e32 v16, v16
	v_lshrrev_b32_e32 v17, 15, v17
	v_mul_u32_u24_e32 v18, 0xadc8, v17
	v_sub_u32_e32 v15, v15, v18
	v_mul_lo_u32 v15, v15, s8
	v_mul_u32_u24_e32 v17, 0xd47, v17
	v_xor_b32_e32 v18, 0x7fffffff, v17
	v_fma_f32 v16, v16, s9, 0
	v_cmp_lt_u32_e32 vcc, v15, v17
	v_sub_u32_e32 v17, 0, v17
	v_cndmask_b32_e32 v17, v17, v18, vcc
	v_add_u32_e32 v15, v17, v15
	v_add_u32_e32 v17, -1, v15
	v_cvt_f32_u32_e32 v17, v17
	v_fma_f32 v17, v17, s9, 0
	v_mul_f32_e32 v17, v17, v17
	v_fmac_f32_e32 v17, v16, v16
	v_cmp_gt_f32_e32 vcc, s11, v17
	v_mul_f32_e32 v16, 0x4f800000, v17
	v_cndmask_b32_e32 v16, v17, v16, vcc
	v_sqrt_f32_e32 v17, v16
	v_add_u32_e32 v18, -1, v17
	v_fma_f32 v19, -v18, v17, v16
	v_cmp_ge_f32_e64 s[0:1], 0, v19
	v_add_u32_e32 v19, 1, v17
	v_cndmask_b32_e64 v18, v17, v18, s[0:1]
	v_fma_f32 v17, -v19, v17, v16
	v_cmp_lt_f32_e64 s[0:1], 0, v17
	v_cndmask_b32_e64 v17, v18, v19, s[0:1]
	v_mul_f32_e32 v18, 0x37800000, v17
	v_cndmask_b32_e32 v17, v17, v18, vcc
	v_cmp_class_f32_e32 vcc, v16, v14
	v_cndmask_b32_e32 v16, v17, v16, vcc
	v_cmp_nge_f32_e32 vcc, 1.0, v16
	v_add_f32_e32 v16, 1.0, v13
	v_cndmask_b32_e32 v13, v16, v13, vcc
	v_mul_hi_u32 v16, v15, s3
	v_lshrrev_b32_e32 v16, 15, v16
	v_mul_u32_u24_e32 v17, 0xadc8, v16
	v_sub_u32_e32 v15, v15, v17
	v_mul_lo_u32 v15, v15, s8
	v_mul_u32_u24_e32 v16, 0xd47, v16
	v_xor_b32_e32 v17, 0x7fffffff, v16
	v_cmp_lt_u32_e32 vcc, v15, v16
	v_sub_u32_e32 v16, 0, v16
	v_cndmask_b32_e32 v16, v16, v17, vcc
	v_add_u32_e32 v15, v16, v15
	v_mul_hi_u32 v17, v15, s3
	v_add_u32_e32 v16, -1, v15
	v_cvt_f32_u32_e32 v16, v16
	v_lshrrev_b32_e32 v17, 15, v17
	v_mul_u32_u24_e32 v18, 0xadc8, v17
	v_sub_u32_e32 v15, v15, v18
	v_mul_lo_u32 v15, v15, s8
	v_mul_u32_u24_e32 v17, 0xd47, v17
	v_xor_b32_e32 v18, 0x7fffffff, v17
	v_fma_f32 v16, v16, s9, 0
	v_cmp_lt_u32_e32 vcc, v15, v17
	v_sub_u32_e32 v17, 0, v17
	v_cndmask_b32_e32 v17, v17, v18, vcc
	v_add_u32_e32 v15, v17, v15
	v_add_u32_e32 v17, -1, v15
	v_cvt_f32_u32_e32 v17, v17
	v_fma_f32 v17, v17, s9, 0
	v_mul_f32_e32 v17, v17, v17
	v_fmac_f32_e32 v17, v16, v16
	v_cmp_gt_f32_e32 vcc, s11, v17
	v_mul_f32_e32 v16, 0x4f800000, v17
	v_cndmask_b32_e32 v16, v17, v16, vcc
	v_sqrt_f32_e32 v17, v16
	v_add_u32_e32 v18, -1, v17
	v_fma_f32 v19, -v18, v17, v16
	v_cmp_ge_f32_e64 s[0:1], 0, v19
	v_add_u32_e32 v19, 1, v17
	v_cndmask_b32_e64 v18, v17, v18, s[0:1]
	v_fma_f32 v17, -v19, v17, v16
	v_cmp_lt_f32_e64 s[0:1], 0, v17
	v_cndmask_b32_e64 v17, v18, v19, s[0:1]
	v_mul_f32_e32 v18, 0x37800000, v17
	v_cndmask_b32_e32 v17, v17, v18, vcc
	v_cmp_class_f32_e32 vcc, v16, v14
	v_cndmask_b32_e32 v16, v17, v16, vcc
	v_cmp_nge_f32_e32 vcc, 1.0, v16
	v_add_f32_e32 v16, 1.0, v13
	v_cndmask_b32_e32 v13, v16, v13, vcc
	s_cbranch_scc1 .LBB31_104
; %bb.105:
	v_add_u32_e32 v14, 0x7f956916, v4
	v_lshrrev_b32_e32 v15, 19, v14
	v_xor_b32_e32 v14, v14, v15
	v_xor_b32_e32 v14, 0xc761c23c, v14
	v_lshl_add_u32 v14, v14, 5, v14
	v_mov_b32_e32 v16, 0xaccf6200
	v_add_u32_e32 v15, 0xe9f8cc1d, v14
	v_lshl_add_u32 v14, v14, 9, v16
	v_xor_b32_e32 v14, v15, v14
	v_lshlrev_b32_e32 v15, 3, v14
	s_mov_b32 s0, 0xfd7046c5
	v_add3_u32 v14, v14, v15, s0
	v_xor_b32_sdwa v14, v14, v14 dst_sel:DWORD dst_unused:UNUSED_PAD src0_sel:DWORD src1_sel:WORD_1
	v_xor_b32_e32 v15, 0xb55a4f09, v14
	v_mul_hi_u32 v14, v15, 3
	s_brev_b32 s0, -2
	s_movk_i32 s2, 0x2710
	s_mov_b32 s3, 0xbc8f1391
	v_sub_u32_e32 v16, v15, v14
	v_lshrrev_b32_e32 v16, 1, v16
	v_add_u32_e32 v14, v16, v14
	v_lshrrev_b32_e32 v14, 30, v14
	v_mul_lo_u32 v16, v14, s0
	v_mov_b32_e32 v14, 0
	s_mov_b32 s8, 0xbc8f
	s_brev_b32 s9, 12
	v_sub_u32_e32 v15, v15, v16
	v_max_u32_e32 v16, 1, v15
	s_mov_b32 s11, 0xf800000
	v_mov_b32_e32 v15, 0x260
.LBB31_106:                             ; =>This Inner Loop Header: Depth=1
	v_mul_hi_u32 v17, v16, s3
	s_add_i32 s2, s2, -2
	s_cmp_lg_u32 s2, 0
	v_lshrrev_b32_e32 v17, 15, v17
	v_mul_u32_u24_e32 v18, 0xadc8, v17
	v_sub_u32_e32 v16, v16, v18
	v_mul_lo_u32 v16, v16, s8
	v_mul_u32_u24_e32 v17, 0xd47, v17
	v_xor_b32_e32 v18, 0x7fffffff, v17
	v_cmp_lt_u32_e32 vcc, v16, v17
	v_sub_u32_e32 v17, 0, v17
	v_cndmask_b32_e32 v17, v17, v18, vcc
	v_add_u32_e32 v16, v17, v16
	v_mul_hi_u32 v18, v16, s3
	v_add_u32_e32 v17, -1, v16
	v_cvt_f32_u32_e32 v17, v17
	v_lshrrev_b32_e32 v18, 15, v18
	v_mul_u32_u24_e32 v19, 0xadc8, v18
	v_sub_u32_e32 v16, v16, v19
	v_mul_lo_u32 v16, v16, s8
	v_mul_u32_u24_e32 v18, 0xd47, v18
	v_xor_b32_e32 v19, 0x7fffffff, v18
	v_fma_f32 v17, v17, s9, 0
	v_cmp_lt_u32_e32 vcc, v16, v18
	v_sub_u32_e32 v18, 0, v18
	v_cndmask_b32_e32 v18, v18, v19, vcc
	v_add_u32_e32 v16, v18, v16
	v_add_u32_e32 v18, -1, v16
	v_cvt_f32_u32_e32 v18, v18
	v_fma_f32 v18, v18, s9, 0
	v_mul_f32_e32 v18, v18, v18
	v_fmac_f32_e32 v18, v17, v17
	v_cmp_gt_f32_e32 vcc, s11, v18
	v_mul_f32_e32 v17, 0x4f800000, v18
	v_cndmask_b32_e32 v17, v18, v17, vcc
	v_sqrt_f32_e32 v18, v17
	v_add_u32_e32 v19, -1, v18
	v_fma_f32 v20, -v19, v18, v17
	v_cmp_ge_f32_e64 s[0:1], 0, v20
	v_add_u32_e32 v20, 1, v18
	v_cndmask_b32_e64 v19, v18, v19, s[0:1]
	v_fma_f32 v18, -v20, v18, v17
	v_cmp_lt_f32_e64 s[0:1], 0, v18
	v_cndmask_b32_e64 v18, v19, v20, s[0:1]
	v_mul_f32_e32 v19, 0x37800000, v18
	v_cndmask_b32_e32 v18, v18, v19, vcc
	v_cmp_class_f32_e32 vcc, v17, v15
	v_cndmask_b32_e32 v17, v18, v17, vcc
	v_cmp_nge_f32_e32 vcc, 1.0, v17
	v_add_f32_e32 v17, 1.0, v14
	v_cndmask_b32_e32 v14, v17, v14, vcc
	v_mul_hi_u32 v17, v16, s3
	v_lshrrev_b32_e32 v17, 15, v17
	v_mul_u32_u24_e32 v18, 0xadc8, v17
	v_sub_u32_e32 v16, v16, v18
	v_mul_lo_u32 v16, v16, s8
	v_mul_u32_u24_e32 v17, 0xd47, v17
	v_xor_b32_e32 v18, 0x7fffffff, v17
	v_cmp_lt_u32_e32 vcc, v16, v17
	v_sub_u32_e32 v17, 0, v17
	v_cndmask_b32_e32 v17, v17, v18, vcc
	v_add_u32_e32 v16, v17, v16
	v_mul_hi_u32 v18, v16, s3
	v_add_u32_e32 v17, -1, v16
	v_cvt_f32_u32_e32 v17, v17
	v_lshrrev_b32_e32 v18, 15, v18
	v_mul_u32_u24_e32 v19, 0xadc8, v18
	v_sub_u32_e32 v16, v16, v19
	v_mul_lo_u32 v16, v16, s8
	v_mul_u32_u24_e32 v18, 0xd47, v18
	v_xor_b32_e32 v19, 0x7fffffff, v18
	v_fma_f32 v17, v17, s9, 0
	v_cmp_lt_u32_e32 vcc, v16, v18
	v_sub_u32_e32 v18, 0, v18
	v_cndmask_b32_e32 v18, v18, v19, vcc
	v_add_u32_e32 v16, v18, v16
	v_add_u32_e32 v18, -1, v16
	v_cvt_f32_u32_e32 v18, v18
	v_fma_f32 v18, v18, s9, 0
	v_mul_f32_e32 v18, v18, v18
	v_fmac_f32_e32 v18, v17, v17
	v_cmp_gt_f32_e32 vcc, s11, v18
	v_mul_f32_e32 v17, 0x4f800000, v18
	v_cndmask_b32_e32 v17, v18, v17, vcc
	v_sqrt_f32_e32 v18, v17
	v_add_u32_e32 v19, -1, v18
	v_fma_f32 v20, -v19, v18, v17
	v_cmp_ge_f32_e64 s[0:1], 0, v20
	v_add_u32_e32 v20, 1, v18
	v_cndmask_b32_e64 v19, v18, v19, s[0:1]
	v_fma_f32 v18, -v20, v18, v17
	v_cmp_lt_f32_e64 s[0:1], 0, v18
	v_cndmask_b32_e64 v18, v19, v20, s[0:1]
	v_mul_f32_e32 v19, 0x37800000, v18
	v_cndmask_b32_e32 v18, v18, v19, vcc
	v_cmp_class_f32_e32 vcc, v17, v15
	v_cndmask_b32_e32 v17, v18, v17, vcc
	v_cmp_nge_f32_e32 vcc, 1.0, v17
	v_add_f32_e32 v17, 1.0, v14
	v_cndmask_b32_e32 v14, v17, v14, vcc
	s_cbranch_scc1 .LBB31_106
; %bb.107:
	v_add_u32_e32 v15, 0x7fa56a16, v4
	v_lshrrev_b32_e32 v16, 19, v15
	v_xor_b32_e32 v15, v15, v16
	v_xor_b32_e32 v15, 0xc761c23c, v15
	v_lshl_add_u32 v15, v15, 5, v15
	v_mov_b32_e32 v17, 0xaccf6200
	v_add_u32_e32 v16, 0xe9f8cc1d, v15
	v_lshl_add_u32 v15, v15, 9, v17
	v_xor_b32_e32 v15, v16, v15
	v_lshlrev_b32_e32 v16, 3, v15
	s_mov_b32 s0, 0xfd7046c5
	v_add3_u32 v15, v15, v16, s0
	v_xor_b32_sdwa v15, v15, v15 dst_sel:DWORD dst_unused:UNUSED_PAD src0_sel:DWORD src1_sel:WORD_1
	v_xor_b32_e32 v16, 0xb55a4f09, v15
	v_mul_hi_u32 v15, v16, 3
	s_brev_b32 s0, -2
	s_movk_i32 s2, 0x2710
	s_mov_b32 s3, 0xbc8f1391
	v_sub_u32_e32 v17, v16, v15
	v_lshrrev_b32_e32 v17, 1, v17
	v_add_u32_e32 v15, v17, v15
	v_lshrrev_b32_e32 v15, 30, v15
	v_mul_lo_u32 v17, v15, s0
	v_mov_b32_e32 v15, 0
	s_mov_b32 s8, 0xbc8f
	s_brev_b32 s9, 12
	v_sub_u32_e32 v16, v16, v17
	v_max_u32_e32 v17, 1, v16
	s_mov_b32 s11, 0xf800000
	v_mov_b32_e32 v16, 0x260
.LBB31_108:                             ; =>This Inner Loop Header: Depth=1
	v_mul_hi_u32 v18, v17, s3
	s_add_i32 s2, s2, -2
	s_cmp_lg_u32 s2, 0
	v_lshrrev_b32_e32 v18, 15, v18
	v_mul_u32_u24_e32 v19, 0xadc8, v18
	v_sub_u32_e32 v17, v17, v19
	v_mul_lo_u32 v17, v17, s8
	v_mul_u32_u24_e32 v18, 0xd47, v18
	v_xor_b32_e32 v19, 0x7fffffff, v18
	v_cmp_lt_u32_e32 vcc, v17, v18
	v_sub_u32_e32 v18, 0, v18
	v_cndmask_b32_e32 v18, v18, v19, vcc
	v_add_u32_e32 v17, v18, v17
	v_mul_hi_u32 v19, v17, s3
	v_add_u32_e32 v18, -1, v17
	v_cvt_f32_u32_e32 v18, v18
	v_lshrrev_b32_e32 v19, 15, v19
	v_mul_u32_u24_e32 v20, 0xadc8, v19
	v_sub_u32_e32 v17, v17, v20
	v_mul_lo_u32 v17, v17, s8
	v_mul_u32_u24_e32 v19, 0xd47, v19
	v_xor_b32_e32 v20, 0x7fffffff, v19
	v_fma_f32 v18, v18, s9, 0
	v_cmp_lt_u32_e32 vcc, v17, v19
	v_sub_u32_e32 v19, 0, v19
	v_cndmask_b32_e32 v19, v19, v20, vcc
	v_add_u32_e32 v17, v19, v17
	v_add_u32_e32 v19, -1, v17
	v_cvt_f32_u32_e32 v19, v19
	v_fma_f32 v19, v19, s9, 0
	v_mul_f32_e32 v19, v19, v19
	v_fmac_f32_e32 v19, v18, v18
	v_cmp_gt_f32_e32 vcc, s11, v19
	v_mul_f32_e32 v18, 0x4f800000, v19
	v_cndmask_b32_e32 v18, v19, v18, vcc
	v_sqrt_f32_e32 v19, v18
	v_add_u32_e32 v20, -1, v19
	v_fma_f32 v21, -v20, v19, v18
	v_cmp_ge_f32_e64 s[0:1], 0, v21
	v_add_u32_e32 v21, 1, v19
	v_cndmask_b32_e64 v20, v19, v20, s[0:1]
	v_fma_f32 v19, -v21, v19, v18
	v_cmp_lt_f32_e64 s[0:1], 0, v19
	v_cndmask_b32_e64 v19, v20, v21, s[0:1]
	v_mul_f32_e32 v20, 0x37800000, v19
	v_cndmask_b32_e32 v19, v19, v20, vcc
	v_cmp_class_f32_e32 vcc, v18, v16
	v_cndmask_b32_e32 v18, v19, v18, vcc
	v_cmp_nge_f32_e32 vcc, 1.0, v18
	v_add_f32_e32 v18, 1.0, v15
	v_cndmask_b32_e32 v15, v18, v15, vcc
	v_mul_hi_u32 v18, v17, s3
	v_lshrrev_b32_e32 v18, 15, v18
	v_mul_u32_u24_e32 v19, 0xadc8, v18
	v_sub_u32_e32 v17, v17, v19
	v_mul_lo_u32 v17, v17, s8
	v_mul_u32_u24_e32 v18, 0xd47, v18
	v_xor_b32_e32 v19, 0x7fffffff, v18
	v_cmp_lt_u32_e32 vcc, v17, v18
	v_sub_u32_e32 v18, 0, v18
	v_cndmask_b32_e32 v18, v18, v19, vcc
	v_add_u32_e32 v17, v18, v17
	v_mul_hi_u32 v19, v17, s3
	v_add_u32_e32 v18, -1, v17
	v_cvt_f32_u32_e32 v18, v18
	v_lshrrev_b32_e32 v19, 15, v19
	v_mul_u32_u24_e32 v20, 0xadc8, v19
	v_sub_u32_e32 v17, v17, v20
	v_mul_lo_u32 v17, v17, s8
	v_mul_u32_u24_e32 v19, 0xd47, v19
	v_xor_b32_e32 v20, 0x7fffffff, v19
	v_fma_f32 v18, v18, s9, 0
	v_cmp_lt_u32_e32 vcc, v17, v19
	v_sub_u32_e32 v19, 0, v19
	v_cndmask_b32_e32 v19, v19, v20, vcc
	v_add_u32_e32 v17, v19, v17
	v_add_u32_e32 v19, -1, v17
	v_cvt_f32_u32_e32 v19, v19
	v_fma_f32 v19, v19, s9, 0
	v_mul_f32_e32 v19, v19, v19
	v_fmac_f32_e32 v19, v18, v18
	v_cmp_gt_f32_e32 vcc, s11, v19
	v_mul_f32_e32 v18, 0x4f800000, v19
	v_cndmask_b32_e32 v18, v19, v18, vcc
	v_sqrt_f32_e32 v19, v18
	v_add_u32_e32 v20, -1, v19
	v_fma_f32 v21, -v20, v19, v18
	v_cmp_ge_f32_e64 s[0:1], 0, v21
	v_add_u32_e32 v21, 1, v19
	v_cndmask_b32_e64 v20, v19, v20, s[0:1]
	v_fma_f32 v19, -v21, v19, v18
	v_cmp_lt_f32_e64 s[0:1], 0, v19
	v_cndmask_b32_e64 v19, v20, v21, s[0:1]
	v_mul_f32_e32 v20, 0x37800000, v19
	v_cndmask_b32_e32 v19, v19, v20, vcc
	v_cmp_class_f32_e32 vcc, v18, v16
	v_cndmask_b32_e32 v18, v19, v18, vcc
	v_cmp_nge_f32_e32 vcc, 1.0, v18
	v_add_f32_e32 v18, 1.0, v15
	v_cndmask_b32_e32 v15, v18, v15, vcc
	s_cbranch_scc1 .LBB31_108
; %bb.109:
	v_add_u32_e32 v16, 0x7fb56b16, v4
	v_lshrrev_b32_e32 v17, 19, v16
	v_xor_b32_e32 v16, v16, v17
	v_xor_b32_e32 v16, 0xc761c23c, v16
	v_lshl_add_u32 v16, v16, 5, v16
	v_mov_b32_e32 v18, 0xaccf6200
	v_add_u32_e32 v17, 0xe9f8cc1d, v16
	v_lshl_add_u32 v16, v16, 9, v18
	v_xor_b32_e32 v16, v17, v16
	v_lshlrev_b32_e32 v17, 3, v16
	s_mov_b32 s0, 0xfd7046c5
	v_add3_u32 v16, v16, v17, s0
	v_xor_b32_sdwa v16, v16, v16 dst_sel:DWORD dst_unused:UNUSED_PAD src0_sel:DWORD src1_sel:WORD_1
	v_xor_b32_e32 v17, 0xb55a4f09, v16
	v_mul_hi_u32 v16, v17, 3
	s_brev_b32 s0, -2
	s_movk_i32 s2, 0x2710
	s_mov_b32 s3, 0xbc8f1391
	v_sub_u32_e32 v18, v17, v16
	v_lshrrev_b32_e32 v18, 1, v18
	v_add_u32_e32 v16, v18, v16
	v_lshrrev_b32_e32 v16, 30, v16
	v_mul_lo_u32 v18, v16, s0
	v_mov_b32_e32 v16, 0
	s_mov_b32 s8, 0xbc8f
	s_brev_b32 s9, 12
	v_sub_u32_e32 v17, v17, v18
	v_max_u32_e32 v18, 1, v17
	s_mov_b32 s11, 0xf800000
	v_mov_b32_e32 v17, 0x260
.LBB31_110:                             ; =>This Inner Loop Header: Depth=1
	v_mul_hi_u32 v19, v18, s3
	s_add_i32 s2, s2, -2
	s_cmp_lg_u32 s2, 0
	v_lshrrev_b32_e32 v19, 15, v19
	v_mul_u32_u24_e32 v20, 0xadc8, v19
	v_sub_u32_e32 v18, v18, v20
	v_mul_lo_u32 v18, v18, s8
	v_mul_u32_u24_e32 v19, 0xd47, v19
	v_xor_b32_e32 v20, 0x7fffffff, v19
	v_cmp_lt_u32_e32 vcc, v18, v19
	v_sub_u32_e32 v19, 0, v19
	v_cndmask_b32_e32 v19, v19, v20, vcc
	v_add_u32_e32 v18, v19, v18
	v_mul_hi_u32 v20, v18, s3
	v_add_u32_e32 v19, -1, v18
	v_cvt_f32_u32_e32 v19, v19
	v_lshrrev_b32_e32 v20, 15, v20
	v_mul_u32_u24_e32 v21, 0xadc8, v20
	v_sub_u32_e32 v18, v18, v21
	v_mul_lo_u32 v18, v18, s8
	v_mul_u32_u24_e32 v20, 0xd47, v20
	v_xor_b32_e32 v21, 0x7fffffff, v20
	v_fma_f32 v19, v19, s9, 0
	v_cmp_lt_u32_e32 vcc, v18, v20
	v_sub_u32_e32 v20, 0, v20
	v_cndmask_b32_e32 v20, v20, v21, vcc
	v_add_u32_e32 v18, v20, v18
	v_add_u32_e32 v20, -1, v18
	v_cvt_f32_u32_e32 v20, v20
	v_fma_f32 v20, v20, s9, 0
	v_mul_f32_e32 v20, v20, v20
	v_fmac_f32_e32 v20, v19, v19
	v_cmp_gt_f32_e32 vcc, s11, v20
	v_mul_f32_e32 v19, 0x4f800000, v20
	v_cndmask_b32_e32 v19, v20, v19, vcc
	v_sqrt_f32_e32 v20, v19
	v_add_u32_e32 v21, -1, v20
	v_fma_f32 v22, -v21, v20, v19
	v_cmp_ge_f32_e64 s[0:1], 0, v22
	v_add_u32_e32 v22, 1, v20
	v_cndmask_b32_e64 v21, v20, v21, s[0:1]
	v_fma_f32 v20, -v22, v20, v19
	v_cmp_lt_f32_e64 s[0:1], 0, v20
	v_cndmask_b32_e64 v20, v21, v22, s[0:1]
	v_mul_f32_e32 v21, 0x37800000, v20
	v_cndmask_b32_e32 v20, v20, v21, vcc
	v_cmp_class_f32_e32 vcc, v19, v17
	v_cndmask_b32_e32 v19, v20, v19, vcc
	v_cmp_nge_f32_e32 vcc, 1.0, v19
	v_add_f32_e32 v19, 1.0, v16
	v_cndmask_b32_e32 v16, v19, v16, vcc
	v_mul_hi_u32 v19, v18, s3
	v_lshrrev_b32_e32 v19, 15, v19
	v_mul_u32_u24_e32 v20, 0xadc8, v19
	v_sub_u32_e32 v18, v18, v20
	v_mul_lo_u32 v18, v18, s8
	v_mul_u32_u24_e32 v19, 0xd47, v19
	v_xor_b32_e32 v20, 0x7fffffff, v19
	v_cmp_lt_u32_e32 vcc, v18, v19
	v_sub_u32_e32 v19, 0, v19
	v_cndmask_b32_e32 v19, v19, v20, vcc
	v_add_u32_e32 v18, v19, v18
	v_mul_hi_u32 v20, v18, s3
	v_add_u32_e32 v19, -1, v18
	v_cvt_f32_u32_e32 v19, v19
	v_lshrrev_b32_e32 v20, 15, v20
	v_mul_u32_u24_e32 v21, 0xadc8, v20
	v_sub_u32_e32 v18, v18, v21
	v_mul_lo_u32 v18, v18, s8
	v_mul_u32_u24_e32 v20, 0xd47, v20
	v_xor_b32_e32 v21, 0x7fffffff, v20
	v_fma_f32 v19, v19, s9, 0
	v_cmp_lt_u32_e32 vcc, v18, v20
	v_sub_u32_e32 v20, 0, v20
	v_cndmask_b32_e32 v20, v20, v21, vcc
	v_add_u32_e32 v18, v20, v18
	v_add_u32_e32 v20, -1, v18
	v_cvt_f32_u32_e32 v20, v20
	v_fma_f32 v20, v20, s9, 0
	v_mul_f32_e32 v20, v20, v20
	v_fmac_f32_e32 v20, v19, v19
	v_cmp_gt_f32_e32 vcc, s11, v20
	v_mul_f32_e32 v19, 0x4f800000, v20
	v_cndmask_b32_e32 v19, v20, v19, vcc
	v_sqrt_f32_e32 v20, v19
	v_add_u32_e32 v21, -1, v20
	v_fma_f32 v22, -v21, v20, v19
	v_cmp_ge_f32_e64 s[0:1], 0, v22
	v_add_u32_e32 v22, 1, v20
	v_cndmask_b32_e64 v21, v20, v21, s[0:1]
	v_fma_f32 v20, -v22, v20, v19
	v_cmp_lt_f32_e64 s[0:1], 0, v20
	v_cndmask_b32_e64 v20, v21, v22, s[0:1]
	v_mul_f32_e32 v21, 0x37800000, v20
	v_cndmask_b32_e32 v20, v20, v21, vcc
	v_cmp_class_f32_e32 vcc, v19, v17
	v_cndmask_b32_e32 v19, v20, v19, vcc
	v_cmp_nge_f32_e32 vcc, 1.0, v19
	v_add_f32_e32 v19, 1.0, v16
	v_cndmask_b32_e32 v16, v19, v16, vcc
	s_cbranch_scc1 .LBB31_110
; %bb.111:
	v_add_u32_e32 v4, 0x7fc56c16, v4
	v_lshrrev_b32_e32 v17, 19, v4
	v_xor_b32_e32 v4, v4, v17
	v_xor_b32_e32 v4, 0xc761c23c, v4
	v_lshl_add_u32 v4, v4, 5, v4
	v_mov_b32_e32 v18, 0xaccf6200
	v_add_u32_e32 v17, 0xe9f8cc1d, v4
	v_lshl_add_u32 v4, v4, 9, v18
	v_xor_b32_e32 v4, v17, v4
	v_lshlrev_b32_e32 v17, 3, v4
	s_mov_b32 s0, 0xfd7046c5
	v_add3_u32 v4, v4, v17, s0
	v_xor_b32_sdwa v4, v4, v4 dst_sel:DWORD dst_unused:UNUSED_PAD src0_sel:DWORD src1_sel:WORD_1
	v_xor_b32_e32 v17, 0xb55a4f09, v4
	v_mul_hi_u32 v4, v17, 3
	s_brev_b32 s0, -2
	s_movk_i32 s2, 0x2710
	s_mov_b32 s3, 0xbc8f1391
	v_sub_u32_e32 v18, v17, v4
	v_lshrrev_b32_e32 v18, 1, v18
	v_add_u32_e32 v4, v18, v4
	v_lshrrev_b32_e32 v4, 30, v4
	v_mul_lo_u32 v18, v4, s0
	v_mov_b32_e32 v4, 0
	s_mov_b32 s8, 0xbc8f
	s_brev_b32 s9, 12
	v_sub_u32_e32 v17, v17, v18
	v_max_u32_e32 v18, 1, v17
	s_mov_b32 s11, 0xf800000
	v_mov_b32_e32 v17, 0x260
.LBB31_112:                             ; =>This Inner Loop Header: Depth=1
	v_mul_hi_u32 v19, v18, s3
	s_add_i32 s2, s2, -2
	s_cmp_lg_u32 s2, 0
	v_lshrrev_b32_e32 v19, 15, v19
	v_mul_u32_u24_e32 v20, 0xadc8, v19
	v_sub_u32_e32 v18, v18, v20
	v_mul_lo_u32 v18, v18, s8
	v_mul_u32_u24_e32 v19, 0xd47, v19
	v_xor_b32_e32 v20, 0x7fffffff, v19
	v_cmp_lt_u32_e32 vcc, v18, v19
	v_sub_u32_e32 v19, 0, v19
	v_cndmask_b32_e32 v19, v19, v20, vcc
	v_add_u32_e32 v18, v19, v18
	v_mul_hi_u32 v20, v18, s3
	v_add_u32_e32 v19, -1, v18
	v_cvt_f32_u32_e32 v19, v19
	v_lshrrev_b32_e32 v20, 15, v20
	v_mul_u32_u24_e32 v21, 0xadc8, v20
	v_sub_u32_e32 v18, v18, v21
	v_mul_lo_u32 v18, v18, s8
	v_mul_u32_u24_e32 v20, 0xd47, v20
	v_xor_b32_e32 v21, 0x7fffffff, v20
	v_fma_f32 v19, v19, s9, 0
	v_cmp_lt_u32_e32 vcc, v18, v20
	v_sub_u32_e32 v20, 0, v20
	v_cndmask_b32_e32 v20, v20, v21, vcc
	v_add_u32_e32 v18, v20, v18
	v_add_u32_e32 v20, -1, v18
	v_cvt_f32_u32_e32 v20, v20
	v_fma_f32 v20, v20, s9, 0
	v_mul_f32_e32 v20, v20, v20
	v_fmac_f32_e32 v20, v19, v19
	v_cmp_gt_f32_e32 vcc, s11, v20
	v_mul_f32_e32 v19, 0x4f800000, v20
	v_cndmask_b32_e32 v19, v20, v19, vcc
	v_sqrt_f32_e32 v20, v19
	v_add_u32_e32 v21, -1, v20
	v_fma_f32 v22, -v21, v20, v19
	v_cmp_ge_f32_e64 s[0:1], 0, v22
	v_add_u32_e32 v22, 1, v20
	v_cndmask_b32_e64 v21, v20, v21, s[0:1]
	v_fma_f32 v20, -v22, v20, v19
	v_cmp_lt_f32_e64 s[0:1], 0, v20
	v_cndmask_b32_e64 v20, v21, v22, s[0:1]
	v_mul_f32_e32 v21, 0x37800000, v20
	v_cndmask_b32_e32 v20, v20, v21, vcc
	v_cmp_class_f32_e32 vcc, v19, v17
	v_cndmask_b32_e32 v19, v20, v19, vcc
	v_cmp_nge_f32_e32 vcc, 1.0, v19
	v_add_f32_e32 v19, 1.0, v4
	v_cndmask_b32_e32 v4, v19, v4, vcc
	v_mul_hi_u32 v19, v18, s3
	v_lshrrev_b32_e32 v19, 15, v19
	v_mul_u32_u24_e32 v20, 0xadc8, v19
	v_sub_u32_e32 v18, v18, v20
	v_mul_lo_u32 v18, v18, s8
	v_mul_u32_u24_e32 v19, 0xd47, v19
	v_xor_b32_e32 v20, 0x7fffffff, v19
	v_cmp_lt_u32_e32 vcc, v18, v19
	v_sub_u32_e32 v19, 0, v19
	v_cndmask_b32_e32 v19, v19, v20, vcc
	v_add_u32_e32 v18, v19, v18
	v_mul_hi_u32 v20, v18, s3
	v_add_u32_e32 v19, -1, v18
	v_cvt_f32_u32_e32 v19, v19
	v_lshrrev_b32_e32 v20, 15, v20
	v_mul_u32_u24_e32 v21, 0xadc8, v20
	v_sub_u32_e32 v18, v18, v21
	v_mul_lo_u32 v18, v18, s8
	v_mul_u32_u24_e32 v20, 0xd47, v20
	v_xor_b32_e32 v21, 0x7fffffff, v20
	v_fma_f32 v19, v19, s9, 0
	v_cmp_lt_u32_e32 vcc, v18, v20
	v_sub_u32_e32 v20, 0, v20
	v_cndmask_b32_e32 v20, v20, v21, vcc
	v_add_u32_e32 v18, v20, v18
	v_add_u32_e32 v20, -1, v18
	v_cvt_f32_u32_e32 v20, v20
	v_fma_f32 v20, v20, s9, 0
	v_mul_f32_e32 v20, v20, v20
	v_fmac_f32_e32 v20, v19, v19
	v_cmp_gt_f32_e32 vcc, s11, v20
	v_mul_f32_e32 v19, 0x4f800000, v20
	v_cndmask_b32_e32 v19, v20, v19, vcc
	v_sqrt_f32_e32 v20, v19
	v_add_u32_e32 v21, -1, v20
	v_fma_f32 v22, -v21, v20, v19
	v_cmp_ge_f32_e64 s[0:1], 0, v22
	v_add_u32_e32 v22, 1, v20
	v_cndmask_b32_e64 v21, v20, v21, s[0:1]
	v_fma_f32 v20, -v22, v20, v19
	v_cmp_lt_f32_e64 s[0:1], 0, v20
	v_cndmask_b32_e64 v20, v21, v22, s[0:1]
	v_mul_f32_e32 v21, 0x37800000, v20
	v_cndmask_b32_e32 v20, v20, v21, vcc
	v_cmp_class_f32_e32 vcc, v19, v17
	v_cndmask_b32_e32 v19, v20, v19, vcc
	v_cmp_nge_f32_e32 vcc, 1.0, v19
	v_add_f32_e32 v19, 1.0, v4
	v_cndmask_b32_e32 v4, v19, v4, vcc
	s_cbranch_scc1 .LBB31_112
; %bb.113:
	v_mul_f32_e32 v10, 4.0, v10
	s_mov_b32 s11, 0x461c4000
	v_div_scale_f32 v17, s[0:1], s11, s11, v10
	v_mul_f32_e32 v9, 4.0, v9
	v_div_scale_f32 v18, s[0:1], s11, s11, v9
	v_div_scale_f32 v19, vcc, v10, s11, v10
	v_div_scale_f32 v20, s[0:1], v9, s11, v9
	v_mul_f32_e32 v8, 4.0, v8
	v_div_scale_f32 v21, s[2:3], s11, s11, v8
	v_div_scale_f32 v24, s[2:3], v8, s11, v8
	v_mul_f32_e32 v7, 4.0, v7
	v_mul_f32_e32 v6, 4.0, v6
	v_rcp_f32_e32 v22, v17
	v_mul_f32_e32 v5, 4.0, v5
	v_div_scale_f32 v27, s[8:9], s11, s11, v5
	v_rcp_f32_e32 v23, v18
	v_fma_f32 v25, -v17, v22, 1.0
	v_fmac_f32_e32 v22, v25, v22
	v_mul_f32_e32 v25, v19, v22
	v_fma_f32 v26, -v18, v23, 1.0
	v_fmac_f32_e32 v23, v26, v23
	v_fma_f32 v26, -v17, v25, v19
	v_fmac_f32_e32 v25, v26, v22
	v_fma_f32 v17, -v17, v25, v19
	v_div_fmas_f32 v17, v17, v22, v25
	v_div_scale_f32 v25, s[8:9], s11, s11, v7
	v_mul_f32_e32 v19, v20, v23
	v_fma_f32 v22, -v18, v19, v20
	v_fmac_f32_e32 v19, v22, v23
	v_rcp_f32_e32 v22, v21
	v_fma_f32 v18, -v18, v19, v20
	s_mov_b64 vcc, s[0:1]
	v_div_scale_f32 v20, s[0:1], v7, s11, v7
	v_div_fmas_f32 v18, v18, v23, v19
	v_fma_f32 v19, -v21, v22, 1.0
	v_div_scale_f32 v26, s[8:9], s11, s11, v6
	v_fmac_f32_e32 v22, v19, v22
	v_mul_f32_e32 v19, v24, v22
	v_fma_f32 v23, -v21, v19, v24
	v_fmac_f32_e32 v19, v23, v22
	v_fma_f32 v21, -v21, v19, v24
	s_mov_b64 vcc, s[2:3]
	v_div_fmas_f32 v19, v21, v22, v19
	v_div_scale_f32 v22, s[2:3], v6, s11, v6
	v_rcp_f32_e32 v23, v25
	s_mov_b64 vcc, s[0:1]
	v_mul_f32_e32 v3, 4.0, v3
	v_div_scale_f32 v28, s[8:9], s11, s11, v3
	v_fma_f32 v21, -v25, v23, 1.0
	v_fmac_f32_e32 v23, v21, v23
	v_mul_f32_e32 v21, v20, v23
	v_fma_f32 v24, -v25, v21, v20
	v_fmac_f32_e32 v21, v24, v23
	v_rcp_f32_e32 v24, v26
	v_fma_f32 v20, -v25, v21, v20
	v_div_fmas_f32 v20, v20, v23, v21
	v_div_scale_f32 v23, s[0:1], v5, s11, v5
	v_fma_f32 v21, -v26, v24, 1.0
	v_fmac_f32_e32 v24, v21, v24
	v_mul_f32_e32 v21, v22, v24
	v_fma_f32 v25, -v26, v21, v22
	v_fmac_f32_e32 v21, v25, v24
	v_fma_f32 v22, -v26, v21, v22
	s_mov_b64 vcc, s[2:3]
	v_div_fmas_f32 v21, v22, v24, v21
	v_div_scale_f32 v24, s[2:3], v3, s11, v3
	v_rcp_f32_e32 v25, v27
	v_mul_f32_e32 v2, 4.0, v2
	v_div_scale_f32 v29, s[8:9], s11, s11, v2
	v_fma_f32 v22, -v27, v25, 1.0
	v_fmac_f32_e32 v25, v22, v25
	v_mul_f32_e32 v22, v23, v25
	v_fma_f32 v26, -v27, v22, v23
	v_fmac_f32_e32 v22, v26, v25
	v_rcp_f32_e32 v26, v28
	v_fma_f32 v23, -v27, v22, v23
	s_mov_b64 vcc, s[0:1]
	v_div_fmas_f32 v22, v23, v25, v22
	v_div_scale_f32 v25, s[0:1], v2, s11, v2
	v_mul_f32_e32 v1, 4.0, v1
	v_fma_f32 v23, -v28, v26, 1.0
	v_div_scale_f32 v30, s[8:9], s11, s11, v1
	v_fmac_f32_e32 v26, v23, v26
	v_mul_f32_e32 v23, v24, v26
	v_fma_f32 v27, -v28, v23, v24
	v_fmac_f32_e32 v23, v27, v26
	v_fma_f32 v24, -v28, v23, v24
	s_mov_b64 vcc, s[2:3]
	v_div_fmas_f32 v23, v24, v26, v23
	v_div_scale_f32 v26, s[2:3], v1, s11, v1
	v_rcp_f32_e32 v27, v29
	v_mul_f32_e32 v11, 4.0, v11
	v_div_scale_f32 v31, s[8:9], s11, s11, v11
	v_fma_f32 v24, -v29, v27, 1.0
	v_fmac_f32_e32 v27, v24, v27
	v_mul_f32_e32 v24, v25, v27
	v_fma_f32 v28, -v29, v24, v25
	v_fmac_f32_e32 v24, v28, v27
	v_rcp_f32_e32 v28, v30
	v_fma_f32 v25, -v29, v24, v25
	s_mov_b64 vcc, s[0:1]
	v_div_fmas_f32 v24, v25, v27, v24
	v_div_scale_f32 v27, s[0:1], v11, s11, v11
	v_fma_f32 v25, -v30, v28, 1.0
	v_fmac_f32_e32 v28, v25, v28
	v_mul_f32_e32 v25, v26, v28
	v_fma_f32 v29, -v30, v25, v26
	v_mul_f32_e32 v12, 4.0, v12
	v_fmac_f32_e32 v25, v29, v28
	v_div_scale_f32 v29, s[8:9], s11, s11, v12
	v_rcp_f32_e32 v32, v31
	v_fma_f32 v26, -v30, v25, v26
	s_mov_b64 vcc, s[2:3]
	v_div_fmas_f32 v25, v26, v28, v25
	v_div_scale_f32 v28, s[2:3], v12, s11, v12
	v_mul_f32_e32 v13, 4.0, v13
	v_div_scale_f32 v33, s[8:9], s11, s11, v13
	v_fma_f32 v26, -v31, v32, 1.0
	v_fmac_f32_e32 v32, v26, v32
	v_mul_f32_e32 v26, v27, v32
	v_fma_f32 v30, -v31, v26, v27
	v_fmac_f32_e32 v26, v30, v32
	v_fma_f32 v27, -v31, v26, v27
	v_div_scale_f32 v31, s[8:9], v13, s11, v13
	v_rcp_f32_e32 v30, v29
	s_mov_b64 vcc, s[0:1]
	v_div_fmas_f32 v26, v27, v32, v26
	v_mul_f32_e32 v14, 4.0, v14
	v_fma_f32 v27, -v29, v30, 1.0
	v_fmac_f32_e32 v30, v27, v30
	v_mul_f32_e32 v27, v28, v30
	v_div_scale_f32 v34, s[0:1], s11, s11, v14
	v_fma_f32 v32, -v29, v27, v28
	v_fmac_f32_e32 v27, v32, v30
	v_rcp_f32_e32 v32, v33
	v_fma_f32 v28, -v29, v27, v28
	s_mov_b64 vcc, s[2:3]
	v_div_fmas_f32 v27, v28, v30, v27
	v_fma_f32 v28, -v33, v32, 1.0
	v_div_scale_f32 v30, s[0:1], v14, s11, v14
	v_fmac_f32_e32 v32, v28, v32
	v_mul_f32_e32 v28, v31, v32
	v_fma_f32 v29, -v33, v28, v31
	v_mul_f32_e32 v15, 4.0, v15
	v_fmac_f32_e32 v28, v29, v32
	v_div_scale_f32 v29, s[2:3], s11, s11, v15
	v_fma_f32 v31, -v33, v28, v31
	s_mov_b64 vcc, s[8:9]
	v_rcp_f32_e32 v35, v34
	v_div_fmas_f32 v28, v31, v32, v28
	v_div_scale_f32 v32, s[2:3], v15, s11, v15
	v_mul_f32_e32 v16, 4.0, v16
	v_div_scale_f32 v33, s[8:9], s11, s11, v16
	v_fma_f32 v31, -v34, v35, 1.0
	v_fmac_f32_e32 v35, v31, v35
	v_mul_f32_e32 v31, v30, v35
	v_fma_f32 v36, -v34, v31, v30
	v_fmac_f32_e32 v31, v36, v35
	v_div_scale_f32 v36, s[8:9], v16, s11, v16
	v_fma_f32 v30, -v34, v31, v30
	v_rcp_f32_e32 v34, v29
	s_mov_b64 vcc, s[0:1]
	v_div_fmas_f32 v30, v30, v35, v31
	v_mul_f32_e32 v4, 4.0, v4
	v_fma_f32 v31, -v29, v34, 1.0
	v_fmac_f32_e32 v34, v31, v34
	v_mul_f32_e32 v31, v32, v34
	v_fma_f32 v35, -v29, v31, v32
	v_fmac_f32_e32 v31, v35, v34
	v_rcp_f32_e32 v35, v33
	v_fma_f32 v29, -v29, v31, v32
	v_div_scale_f32 v32, s[0:1], s11, s11, v4
	s_mov_b64 vcc, s[2:3]
	v_div_fmas_f32 v29, v29, v34, v31
	v_fma_f32 v31, -v33, v35, 1.0
	v_fmac_f32_e32 v35, v31, v35
	v_mul_f32_e32 v31, v36, v35
	v_fma_f32 v34, -v33, v31, v36
	v_fmac_f32_e32 v31, v34, v35
	v_div_scale_f32 v34, s[0:1], v4, s11, v4
	v_fma_f32 v33, -v33, v31, v36
	s_mov_b64 vcc, s[8:9]
	v_div_fmas_f32 v31, v33, v35, v31
	s_mov_b64 vcc, s[0:1]
	v_div_fixup_f32 v2, v24, s11, v2
	v_rcp_f32_e32 v36, v32
	v_div_fixup_f32 v1, v25, s11, v1
	v_div_fixup_f32 v3, v23, s11, v3
	v_add_f32_e32 v1, v1, v2
	v_fma_f32 v33, -v32, v36, 1.0
	v_fmac_f32_e32 v36, v33, v36
	v_div_fixup_f32 v5, v22, s11, v5
	v_add_f32_e32 v1, v1, v3
	v_div_fixup_f32 v6, v21, s11, v6
	v_mul_f32_e32 v33, v34, v36
	v_fma_f32 v35, -v32, v33, v34
	v_fmac_f32_e32 v33, v35, v36
	v_fma_f32 v32, -v32, v33, v34
	v_div_fmas_f32 v32, v32, v36, v33
	v_add_f32_e32 v1, v1, v5
	v_div_fixup_f32 v7, v20, s11, v7
	v_add_f32_e32 v1, v1, v6
	v_div_fixup_f32 v8, v19, s11, v8
	;; [unrolled: 2-line block ×11, first 2 shown]
	v_add_f32_e32 v1, v1, v16
	v_add_f32_e32 v1, v1, v4
	v_mbcnt_lo_u32_b32 v2, -1, 0
	v_mbcnt_hi_u32_b32 v2, -1, v2
	v_add_f32_dpp v1, v1, v1 quad_perm:[1,0,3,2] row_mask:0xf bank_mask:0xf bound_ctrl:1
	v_lshlrev_b32_e32 v3, 2, v2
	v_or_b32_e32 v4, 0xfc, v3
	v_add_f32_dpp v1, v1, v1 quad_perm:[2,3,0,1] row_mask:0xf bank_mask:0xf bound_ctrl:1
	v_cmp_eq_u32_e32 vcc, 0, v2
	s_nop 0
	v_add_f32_dpp v1, v1, v1 row_ror:4 row_mask:0xf bank_mask:0xf bound_ctrl:1
	s_nop 1
	v_add_f32_dpp v1, v1, v1 row_ror:8 row_mask:0xf bank_mask:0xf bound_ctrl:1
	s_nop 1
	v_add_f32_dpp v1, v1, v1 row_bcast:15 row_mask:0xf bank_mask:0xf bound_ctrl:1
	s_nop 1
	v_add_f32_dpp v1, v1, v1 row_bcast:31 row_mask:0xf bank_mask:0xf bound_ctrl:1
	ds_bpermute_b32 v1, v4, v1
	s_and_saveexec_b64 s[0:1], vcc
	s_cbranch_execz .LBB31_115
; %bb.114:
	v_lshrrev_b32_e32 v4, 4, v0
	v_and_b32_e32 v4, 12, v4
	s_waitcnt lgkmcnt(0)
	ds_write_b32 v4, v1
.LBB31_115:
	s_or_b64 exec, exec, s[0:1]
	v_cmp_gt_u32_e32 vcc, 64, v0
	s_waitcnt lgkmcnt(0)
	s_barrier
	s_and_saveexec_b64 s[0:1], vcc
	s_cbranch_execz .LBB31_117
; %bb.116:
	v_and_b32_e32 v1, 3, v2
	v_lshlrev_b32_e32 v4, 2, v1
	ds_read_b32 v4, v4
	v_cmp_ne_u32_e32 vcc, 3, v1
	v_addc_co_u32_e32 v1, vcc, 0, v2, vcc
	v_lshlrev_b32_e32 v1, 2, v1
	s_waitcnt lgkmcnt(0)
	ds_bpermute_b32 v1, v1, v4
	v_or_b32_e32 v2, 8, v3
	s_waitcnt lgkmcnt(0)
	v_add_f32_e32 v1, v4, v1
	ds_bpermute_b32 v2, v2, v1
	s_waitcnt lgkmcnt(0)
	v_add_f32_e32 v1, v1, v2
.LBB31_117:
	s_or_b64 exec, exec, s[0:1]
	s_mov_b64 s[0:1], 0
	s_branch .LBB31_255
.LBB31_118:
                                        ; implicit-def: $vgpr1
	s_branch .LBB31_350
.LBB31_119:
                                        ; implicit-def: $vgpr1
	s_cbranch_execz .LBB31_74
; %bb.120:
	s_sub_i32 s80, s72, s2
	v_cmp_gt_u32_e32 vcc, s80, v0
                                        ; implicit-def: $vgpr1
	s_and_saveexec_b64 s[2:3], vcc
	s_cbranch_execz .LBB31_124
; %bb.121:
	v_add_u32_e32 v1, s33, v0
	v_lshlrev_b32_e32 v2, 12, v1
	s_mov_b32 s0, 0x7ed55d16
	v_add3_u32 v1, v1, v2, s0
	v_lshrrev_b32_e32 v2, 19, v1
	v_xor_b32_e32 v1, v1, v2
	v_xor_b32_e32 v1, 0xc761c23c, v1
	v_lshl_add_u32 v1, v1, 5, v1
	v_mov_b32_e32 v3, 0xaccf6200
	v_add_u32_e32 v2, 0xe9f8cc1d, v1
	v_lshl_add_u32 v1, v1, 9, v3
	v_xor_b32_e32 v1, v2, v1
	v_lshlrev_b32_e32 v2, 3, v1
	s_mov_b32 s0, 0xfd7046c5
	v_add3_u32 v1, v1, v2, s0
	v_xor_b32_sdwa v1, v1, v1 dst_sel:DWORD dst_unused:UNUSED_PAD src0_sel:DWORD src1_sel:WORD_1
	v_xor_b32_e32 v1, 0xb55a4f09, v1
	v_mul_hi_u32 v2, v1, 3
	s_brev_b32 s0, -2
	s_movk_i32 s8, 0x2710
	s_mov_b32 s9, 0xbc8f1391
	v_sub_u32_e32 v3, v1, v2
	v_lshrrev_b32_e32 v3, 1, v3
	v_add_u32_e32 v2, v3, v2
	v_lshrrev_b32_e32 v2, 30, v2
	v_mul_lo_u32 v3, v2, s0
	v_mov_b32_e32 v2, 0
	s_mov_b32 s10, 0xbc8f
	s_brev_b32 s11, 12
	v_sub_u32_e32 v1, v1, v3
	v_max_u32_e32 v3, 1, v1
	s_mov_b32 s12, 0xf800000
	v_mov_b32_e32 v1, 0x260
.LBB31_122:                             ; =>This Inner Loop Header: Depth=1
	v_mul_hi_u32 v4, v3, s9
	v_add_f32_e32 v5, 1.0, v2
	s_add_i32 s8, s8, -2
	s_cmp_lg_u32 s8, 0
	v_lshrrev_b32_e32 v4, 15, v4
	v_mul_u32_u24_e32 v6, 0xadc8, v4
	v_sub_u32_e32 v3, v3, v6
	v_mul_lo_u32 v3, v3, s10
	v_mul_u32_u24_e32 v4, 0xd47, v4
	v_xor_b32_e32 v6, 0x7fffffff, v4
	v_sub_u32_e32 v7, 0, v4
	v_cmp_lt_u32_e32 vcc, v3, v4
	v_cndmask_b32_e32 v4, v7, v6, vcc
	v_add_u32_e32 v3, v4, v3
	v_mul_hi_u32 v6, v3, s9
	v_add_u32_e32 v4, -1, v3
	v_cvt_f32_u32_e32 v4, v4
	v_lshrrev_b32_e32 v6, 15, v6
	v_mul_u32_u24_e32 v7, 0xadc8, v6
	v_sub_u32_e32 v3, v3, v7
	v_mul_lo_u32 v3, v3, s10
	v_mul_u32_u24_e32 v6, 0xd47, v6
	v_xor_b32_e32 v7, 0x7fffffff, v6
	v_sub_u32_e32 v8, 0, v6
	v_cmp_lt_u32_e32 vcc, v3, v6
	v_cndmask_b32_e32 v6, v8, v7, vcc
	v_add_u32_e32 v3, v6, v3
	v_mul_hi_u32 v7, v3, s9
	v_add_u32_e32 v6, -1, v3
	v_cvt_f32_u32_e32 v6, v6
	v_fma_f32 v4, v4, s11, 0
	v_lshrrev_b32_e32 v7, 15, v7
	v_mul_u32_u24_e32 v8, 0xadc8, v7
	v_fma_f32 v6, v6, s11, 0
	v_sub_u32_e32 v3, v3, v8
	v_mul_f32_e32 v6, v6, v6
	v_mul_lo_u32 v3, v3, s10
	v_fmac_f32_e32 v6, v4, v4
	v_mul_f32_e32 v4, 0x4f800000, v6
	v_cmp_gt_f32_e32 vcc, s12, v6
	v_mul_u32_u24_e32 v7, 0xd47, v7
	v_cndmask_b32_e32 v4, v6, v4, vcc
	v_xor_b32_e32 v8, 0x7fffffff, v7
	v_sub_u32_e32 v9, 0, v7
	v_sqrt_f32_e32 v6, v4
	v_cmp_lt_u32_e64 s[0:1], v3, v7
	v_cndmask_b32_e64 v7, v9, v8, s[0:1]
	v_add_u32_e32 v3, v7, v3
	v_mul_hi_u32 v8, v3, s9
	v_add_u32_e32 v9, -1, v6
	v_add_u32_e32 v10, 1, v6
	v_fma_f32 v11, -v9, v6, v4
	v_fma_f32 v12, -v10, v6, v4
	v_cmp_ge_f32_e64 s[0:1], 0, v11
	v_cndmask_b32_e64 v6, v6, v9, s[0:1]
	v_cmp_lt_f32_e64 s[0:1], 0, v12
	v_lshrrev_b32_e32 v8, 15, v8
	v_cndmask_b32_e64 v6, v6, v10, s[0:1]
	v_mul_u32_u24_e32 v10, 0xadc8, v8
	v_add_u32_e32 v7, -1, v3
	v_sub_u32_e32 v3, v3, v10
	v_mul_f32_e32 v9, 0x37800000, v6
	v_mul_lo_u32 v3, v3, s10
	v_cndmask_b32_e32 v6, v6, v9, vcc
	v_cmp_class_f32_e32 vcc, v4, v1
	v_cndmask_b32_e32 v4, v6, v4, vcc
	v_mul_u32_u24_e32 v8, 0xd47, v8
	v_cmp_nge_f32_e32 vcc, 1.0, v4
	v_xor_b32_e32 v9, 0x7fffffff, v8
	v_sub_u32_e32 v10, 0, v8
	v_cndmask_b32_e32 v2, v5, v2, vcc
	v_cmp_lt_u32_e32 vcc, v3, v8
	v_cndmask_b32_e32 v5, v10, v9, vcc
	v_add_u32_e32 v3, v5, v3
	v_add_u32_e32 v5, -1, v3
	v_cvt_f32_u32_e32 v5, v5
	v_cvt_f32_u32_e32 v7, v7
	v_add_f32_e32 v4, 1.0, v2
	v_fma_f32 v5, v5, s11, 0
	v_fma_f32 v7, v7, s11, 0
	v_mul_f32_e32 v5, v5, v5
	v_fmac_f32_e32 v5, v7, v7
	v_mul_f32_e32 v6, 0x4f800000, v5
	v_cmp_gt_f32_e32 vcc, s12, v5
	v_cndmask_b32_e32 v5, v5, v6, vcc
	v_sqrt_f32_e32 v6, v5
	v_add_u32_e32 v7, -1, v6
	v_add_u32_e32 v8, 1, v6
	v_fma_f32 v9, -v7, v6, v5
	v_fma_f32 v10, -v8, v6, v5
	v_cmp_ge_f32_e64 s[0:1], 0, v9
	v_cndmask_b32_e64 v6, v6, v7, s[0:1]
	v_cmp_lt_f32_e64 s[0:1], 0, v10
	v_cndmask_b32_e64 v6, v6, v8, s[0:1]
	v_mul_f32_e32 v7, 0x37800000, v6
	v_cndmask_b32_e32 v6, v6, v7, vcc
	v_cmp_class_f32_e32 vcc, v5, v1
	v_cndmask_b32_e32 v5, v6, v5, vcc
	v_cmp_nge_f32_e32 vcc, 1.0, v5
	v_cndmask_b32_e32 v2, v4, v2, vcc
	s_cbranch_scc1 .LBB31_122
; %bb.123:
	v_mul_f32_e32 v1, 4.0, v2
	s_mov_b32 s8, 0x461c4000
	v_div_scale_f32 v2, s[0:1], s8, s8, v1
	v_div_scale_f32 v3, vcc, v1, s8, v1
	v_rcp_f32_e32 v4, v2
	v_fma_f32 v5, -v2, v4, 1.0
	v_fmac_f32_e32 v4, v5, v4
	v_mul_f32_e32 v5, v3, v4
	v_fma_f32 v6, -v2, v5, v3
	v_fmac_f32_e32 v5, v6, v4
	v_fma_f32 v2, -v2, v5, v3
	v_div_fmas_f32 v2, v2, v4, v5
	v_div_fixup_f32 v1, v2, s8, v1
.LBB31_124:
	s_or_b64 exec, exec, s[2:3]
	v_or_b32_e32 v3, 0x100, v0
	v_cmp_gt_u32_e64 s[0:1], s80, v3
                                        ; implicit-def: $vgpr2
	s_and_saveexec_b64 s[8:9], s[0:1]
	s_cbranch_execz .LBB31_128
; %bb.125:
	v_add_u32_e32 v2, s33, v3
	v_lshlrev_b32_e32 v3, 12, v2
	s_mov_b32 s2, 0x7ed55d16
	v_add3_u32 v2, v2, v3, s2
	v_lshrrev_b32_e32 v3, 19, v2
	v_xor_b32_e32 v2, v2, v3
	v_xor_b32_e32 v2, 0xc761c23c, v2
	v_lshl_add_u32 v2, v2, 5, v2
	v_mov_b32_e32 v4, 0xaccf6200
	v_add_u32_e32 v3, 0xe9f8cc1d, v2
	v_lshl_add_u32 v2, v2, 9, v4
	v_xor_b32_e32 v2, v3, v2
	v_lshlrev_b32_e32 v3, 3, v2
	s_mov_b32 s2, 0xfd7046c5
	v_add3_u32 v2, v2, v3, s2
	v_xor_b32_sdwa v2, v2, v2 dst_sel:DWORD dst_unused:UNUSED_PAD src0_sel:DWORD src1_sel:WORD_1
	v_xor_b32_e32 v2, 0xb55a4f09, v2
	v_mul_hi_u32 v3, v2, 3
	s_brev_b32 s2, -2
	s_movk_i32 s10, 0x2710
	s_mov_b32 s11, 0xbc8f1391
	v_sub_u32_e32 v4, v2, v3
	v_lshrrev_b32_e32 v4, 1, v4
	v_add_u32_e32 v3, v4, v3
	v_lshrrev_b32_e32 v3, 30, v3
	v_mul_lo_u32 v4, v3, s2
	v_mov_b32_e32 v3, 0
	s_mov_b32 s12, 0xbc8f
	s_brev_b32 s13, 12
	v_sub_u32_e32 v2, v2, v4
	v_max_u32_e32 v4, 1, v2
	s_mov_b32 s14, 0xf800000
	v_mov_b32_e32 v2, 0x260
.LBB31_126:                             ; =>This Inner Loop Header: Depth=1
	v_mul_hi_u32 v5, v4, s11
	v_add_f32_e32 v6, 1.0, v3
	s_add_i32 s10, s10, -2
	s_cmp_lg_u32 s10, 0
	v_lshrrev_b32_e32 v5, 15, v5
	v_mul_u32_u24_e32 v7, 0xadc8, v5
	v_sub_u32_e32 v4, v4, v7
	v_mul_lo_u32 v4, v4, s12
	v_mul_u32_u24_e32 v5, 0xd47, v5
	v_xor_b32_e32 v7, 0x7fffffff, v5
	v_sub_u32_e32 v8, 0, v5
	v_cmp_lt_u32_e32 vcc, v4, v5
	v_cndmask_b32_e32 v5, v8, v7, vcc
	v_add_u32_e32 v4, v5, v4
	v_mul_hi_u32 v7, v4, s11
	v_add_u32_e32 v5, -1, v4
	v_cvt_f32_u32_e32 v5, v5
	v_lshrrev_b32_e32 v7, 15, v7
	v_mul_u32_u24_e32 v8, 0xadc8, v7
	v_sub_u32_e32 v4, v4, v8
	v_mul_lo_u32 v4, v4, s12
	v_mul_u32_u24_e32 v7, 0xd47, v7
	v_xor_b32_e32 v8, 0x7fffffff, v7
	v_sub_u32_e32 v9, 0, v7
	v_cmp_lt_u32_e32 vcc, v4, v7
	v_cndmask_b32_e32 v7, v9, v8, vcc
	v_add_u32_e32 v4, v7, v4
	v_mul_hi_u32 v8, v4, s11
	v_add_u32_e32 v7, -1, v4
	v_cvt_f32_u32_e32 v7, v7
	v_fma_f32 v5, v5, s13, 0
	v_lshrrev_b32_e32 v8, 15, v8
	v_mul_u32_u24_e32 v9, 0xadc8, v8
	v_fma_f32 v7, v7, s13, 0
	v_sub_u32_e32 v4, v4, v9
	v_mul_f32_e32 v7, v7, v7
	v_mul_lo_u32 v4, v4, s12
	v_fmac_f32_e32 v7, v5, v5
	v_mul_f32_e32 v5, 0x4f800000, v7
	v_cmp_gt_f32_e32 vcc, s14, v7
	v_mul_u32_u24_e32 v8, 0xd47, v8
	v_cndmask_b32_e32 v5, v7, v5, vcc
	v_xor_b32_e32 v9, 0x7fffffff, v8
	v_sub_u32_e32 v10, 0, v8
	v_sqrt_f32_e32 v7, v5
	v_cmp_lt_u32_e64 s[2:3], v4, v8
	v_cndmask_b32_e64 v8, v10, v9, s[2:3]
	v_add_u32_e32 v4, v8, v4
	v_mul_hi_u32 v9, v4, s11
	v_add_u32_e32 v10, -1, v7
	v_add_u32_e32 v11, 1, v7
	v_fma_f32 v12, -v10, v7, v5
	v_fma_f32 v13, -v11, v7, v5
	v_cmp_ge_f32_e64 s[2:3], 0, v12
	v_cndmask_b32_e64 v7, v7, v10, s[2:3]
	v_cmp_lt_f32_e64 s[2:3], 0, v13
	v_lshrrev_b32_e32 v9, 15, v9
	v_cndmask_b32_e64 v7, v7, v11, s[2:3]
	v_mul_u32_u24_e32 v11, 0xadc8, v9
	v_add_u32_e32 v8, -1, v4
	v_sub_u32_e32 v4, v4, v11
	v_mul_f32_e32 v10, 0x37800000, v7
	v_mul_lo_u32 v4, v4, s12
	v_cndmask_b32_e32 v7, v7, v10, vcc
	v_cmp_class_f32_e32 vcc, v5, v2
	v_cndmask_b32_e32 v5, v7, v5, vcc
	v_mul_u32_u24_e32 v9, 0xd47, v9
	v_cmp_nge_f32_e32 vcc, 1.0, v5
	v_xor_b32_e32 v10, 0x7fffffff, v9
	v_sub_u32_e32 v11, 0, v9
	v_cndmask_b32_e32 v3, v6, v3, vcc
	v_cmp_lt_u32_e32 vcc, v4, v9
	v_cndmask_b32_e32 v6, v11, v10, vcc
	v_add_u32_e32 v4, v6, v4
	v_add_u32_e32 v6, -1, v4
	v_cvt_f32_u32_e32 v6, v6
	v_cvt_f32_u32_e32 v8, v8
	v_add_f32_e32 v5, 1.0, v3
	v_fma_f32 v6, v6, s13, 0
	v_fma_f32 v8, v8, s13, 0
	v_mul_f32_e32 v6, v6, v6
	v_fmac_f32_e32 v6, v8, v8
	v_mul_f32_e32 v7, 0x4f800000, v6
	v_cmp_gt_f32_e32 vcc, s14, v6
	v_cndmask_b32_e32 v6, v6, v7, vcc
	v_sqrt_f32_e32 v7, v6
	v_add_u32_e32 v8, -1, v7
	v_add_u32_e32 v9, 1, v7
	v_fma_f32 v10, -v8, v7, v6
	v_fma_f32 v11, -v9, v7, v6
	v_cmp_ge_f32_e64 s[2:3], 0, v10
	v_cndmask_b32_e64 v7, v7, v8, s[2:3]
	v_cmp_lt_f32_e64 s[2:3], 0, v11
	v_cndmask_b32_e64 v7, v7, v9, s[2:3]
	v_mul_f32_e32 v8, 0x37800000, v7
	v_cndmask_b32_e32 v7, v7, v8, vcc
	v_cmp_class_f32_e32 vcc, v6, v2
	v_cndmask_b32_e32 v6, v7, v6, vcc
	v_cmp_nge_f32_e32 vcc, 1.0, v6
	v_cndmask_b32_e32 v3, v5, v3, vcc
	s_cbranch_scc1 .LBB31_126
; %bb.127:
	v_mul_f32_e32 v2, 4.0, v3
	s_mov_b32 s10, 0x461c4000
	v_div_scale_f32 v3, s[2:3], s10, s10, v2
	v_div_scale_f32 v4, vcc, v2, s10, v2
	v_rcp_f32_e32 v5, v3
	v_fma_f32 v6, -v3, v5, 1.0
	v_fmac_f32_e32 v5, v6, v5
	v_mul_f32_e32 v6, v4, v5
	v_fma_f32 v7, -v3, v6, v4
	v_fmac_f32_e32 v6, v7, v5
	v_fma_f32 v3, -v3, v6, v4
	v_div_fmas_f32 v3, v3, v5, v6
	v_div_fixup_f32 v2, v3, s10, v2
.LBB31_128:
	s_or_b64 exec, exec, s[8:9]
	v_or_b32_e32 v4, 0x200, v0
	v_cmp_gt_u32_e64 s[2:3], s80, v4
                                        ; implicit-def: $vgpr3
	s_and_saveexec_b64 s[10:11], s[2:3]
	s_cbranch_execz .LBB31_132
; %bb.129:
	v_add_u32_e32 v3, s33, v4
	v_lshlrev_b32_e32 v4, 12, v3
	s_mov_b32 s8, 0x7ed55d16
	v_add3_u32 v3, v3, v4, s8
	v_lshrrev_b32_e32 v4, 19, v3
	v_xor_b32_e32 v3, v3, v4
	v_xor_b32_e32 v3, 0xc761c23c, v3
	v_lshl_add_u32 v3, v3, 5, v3
	v_mov_b32_e32 v5, 0xaccf6200
	v_add_u32_e32 v4, 0xe9f8cc1d, v3
	v_lshl_add_u32 v3, v3, 9, v5
	v_xor_b32_e32 v3, v4, v3
	v_lshlrev_b32_e32 v4, 3, v3
	s_mov_b32 s8, 0xfd7046c5
	v_add3_u32 v3, v3, v4, s8
	v_xor_b32_sdwa v3, v3, v3 dst_sel:DWORD dst_unused:UNUSED_PAD src0_sel:DWORD src1_sel:WORD_1
	v_xor_b32_e32 v3, 0xb55a4f09, v3
	v_mul_hi_u32 v4, v3, 3
	s_brev_b32 s8, -2
	s_movk_i32 s12, 0x2710
	s_mov_b32 s13, 0xbc8f1391
	v_sub_u32_e32 v5, v3, v4
	v_lshrrev_b32_e32 v5, 1, v5
	v_add_u32_e32 v4, v5, v4
	v_lshrrev_b32_e32 v4, 30, v4
	v_mul_lo_u32 v5, v4, s8
	v_mov_b32_e32 v4, 0
	s_mov_b32 s14, 0xbc8f
	s_brev_b32 s15, 12
	v_sub_u32_e32 v3, v3, v5
	v_max_u32_e32 v5, 1, v3
	s_mov_b32 s16, 0xf800000
	v_mov_b32_e32 v3, 0x260
.LBB31_130:                             ; =>This Inner Loop Header: Depth=1
	v_mul_hi_u32 v6, v5, s13
	v_add_f32_e32 v7, 1.0, v4
	s_add_i32 s12, s12, -2
	s_cmp_lg_u32 s12, 0
	v_lshrrev_b32_e32 v6, 15, v6
	v_mul_u32_u24_e32 v8, 0xadc8, v6
	v_sub_u32_e32 v5, v5, v8
	v_mul_lo_u32 v5, v5, s14
	v_mul_u32_u24_e32 v6, 0xd47, v6
	v_xor_b32_e32 v8, 0x7fffffff, v6
	v_sub_u32_e32 v9, 0, v6
	v_cmp_lt_u32_e32 vcc, v5, v6
	v_cndmask_b32_e32 v6, v9, v8, vcc
	v_add_u32_e32 v5, v6, v5
	v_mul_hi_u32 v8, v5, s13
	v_add_u32_e32 v6, -1, v5
	v_cvt_f32_u32_e32 v6, v6
	v_lshrrev_b32_e32 v8, 15, v8
	v_mul_u32_u24_e32 v9, 0xadc8, v8
	v_sub_u32_e32 v5, v5, v9
	v_mul_lo_u32 v5, v5, s14
	v_mul_u32_u24_e32 v8, 0xd47, v8
	v_xor_b32_e32 v9, 0x7fffffff, v8
	v_sub_u32_e32 v10, 0, v8
	v_cmp_lt_u32_e32 vcc, v5, v8
	v_cndmask_b32_e32 v8, v10, v9, vcc
	v_add_u32_e32 v5, v8, v5
	v_mul_hi_u32 v9, v5, s13
	v_add_u32_e32 v8, -1, v5
	v_cvt_f32_u32_e32 v8, v8
	v_fma_f32 v6, v6, s15, 0
	v_lshrrev_b32_e32 v9, 15, v9
	v_mul_u32_u24_e32 v10, 0xadc8, v9
	v_fma_f32 v8, v8, s15, 0
	v_sub_u32_e32 v5, v5, v10
	v_mul_f32_e32 v8, v8, v8
	v_mul_lo_u32 v5, v5, s14
	v_fmac_f32_e32 v8, v6, v6
	v_mul_f32_e32 v6, 0x4f800000, v8
	v_cmp_gt_f32_e32 vcc, s16, v8
	v_mul_u32_u24_e32 v9, 0xd47, v9
	v_cndmask_b32_e32 v6, v8, v6, vcc
	v_xor_b32_e32 v10, 0x7fffffff, v9
	v_sub_u32_e32 v11, 0, v9
	v_sqrt_f32_e32 v8, v6
	v_cmp_lt_u32_e64 s[8:9], v5, v9
	v_cndmask_b32_e64 v9, v11, v10, s[8:9]
	v_add_u32_e32 v5, v9, v5
	v_mul_hi_u32 v10, v5, s13
	v_add_u32_e32 v11, -1, v8
	v_add_u32_e32 v12, 1, v8
	v_fma_f32 v13, -v11, v8, v6
	v_fma_f32 v14, -v12, v8, v6
	v_cmp_ge_f32_e64 s[8:9], 0, v13
	v_cndmask_b32_e64 v8, v8, v11, s[8:9]
	v_cmp_lt_f32_e64 s[8:9], 0, v14
	v_lshrrev_b32_e32 v10, 15, v10
	v_cndmask_b32_e64 v8, v8, v12, s[8:9]
	v_mul_u32_u24_e32 v12, 0xadc8, v10
	v_add_u32_e32 v9, -1, v5
	v_sub_u32_e32 v5, v5, v12
	v_mul_f32_e32 v11, 0x37800000, v8
	v_mul_lo_u32 v5, v5, s14
	v_cndmask_b32_e32 v8, v8, v11, vcc
	v_cmp_class_f32_e32 vcc, v6, v3
	v_cndmask_b32_e32 v6, v8, v6, vcc
	v_mul_u32_u24_e32 v10, 0xd47, v10
	v_cmp_nge_f32_e32 vcc, 1.0, v6
	v_xor_b32_e32 v11, 0x7fffffff, v10
	v_sub_u32_e32 v12, 0, v10
	v_cndmask_b32_e32 v4, v7, v4, vcc
	v_cmp_lt_u32_e32 vcc, v5, v10
	v_cndmask_b32_e32 v7, v12, v11, vcc
	v_add_u32_e32 v5, v7, v5
	v_add_u32_e32 v7, -1, v5
	v_cvt_f32_u32_e32 v7, v7
	v_cvt_f32_u32_e32 v9, v9
	v_add_f32_e32 v6, 1.0, v4
	v_fma_f32 v7, v7, s15, 0
	v_fma_f32 v9, v9, s15, 0
	v_mul_f32_e32 v7, v7, v7
	v_fmac_f32_e32 v7, v9, v9
	v_mul_f32_e32 v8, 0x4f800000, v7
	v_cmp_gt_f32_e32 vcc, s16, v7
	v_cndmask_b32_e32 v7, v7, v8, vcc
	v_sqrt_f32_e32 v8, v7
	v_add_u32_e32 v9, -1, v8
	v_add_u32_e32 v10, 1, v8
	v_fma_f32 v11, -v9, v8, v7
	v_fma_f32 v12, -v10, v8, v7
	v_cmp_ge_f32_e64 s[8:9], 0, v11
	v_cndmask_b32_e64 v8, v8, v9, s[8:9]
	v_cmp_lt_f32_e64 s[8:9], 0, v12
	v_cndmask_b32_e64 v8, v8, v10, s[8:9]
	v_mul_f32_e32 v9, 0x37800000, v8
	v_cndmask_b32_e32 v8, v8, v9, vcc
	v_cmp_class_f32_e32 vcc, v7, v3
	v_cndmask_b32_e32 v7, v8, v7, vcc
	v_cmp_nge_f32_e32 vcc, 1.0, v7
	v_cndmask_b32_e32 v4, v6, v4, vcc
	s_cbranch_scc1 .LBB31_130
; %bb.131:
	v_mul_f32_e32 v3, 4.0, v4
	s_mov_b32 s12, 0x461c4000
	v_div_scale_f32 v4, s[8:9], s12, s12, v3
	v_div_scale_f32 v5, vcc, v3, s12, v3
	v_rcp_f32_e32 v6, v4
	v_fma_f32 v7, -v4, v6, 1.0
	v_fmac_f32_e32 v6, v7, v6
	v_mul_f32_e32 v7, v5, v6
	v_fma_f32 v8, -v4, v7, v5
	v_fmac_f32_e32 v7, v8, v6
	v_fma_f32 v4, -v4, v7, v5
	v_div_fmas_f32 v4, v4, v6, v7
	v_div_fixup_f32 v3, v4, s12, v3
.LBB31_132:
	s_or_b64 exec, exec, s[10:11]
	v_or_b32_e32 v5, 0x300, v0
	v_cmp_gt_u32_e64 s[8:9], s80, v5
                                        ; implicit-def: $vgpr4
	s_and_saveexec_b64 s[12:13], s[8:9]
	s_cbranch_execz .LBB31_136
; %bb.133:
	v_add_u32_e32 v4, s33, v5
	v_lshlrev_b32_e32 v5, 12, v4
	s_mov_b32 s10, 0x7ed55d16
	v_add3_u32 v4, v4, v5, s10
	v_lshrrev_b32_e32 v5, 19, v4
	v_xor_b32_e32 v4, v4, v5
	v_xor_b32_e32 v4, 0xc761c23c, v4
	v_lshl_add_u32 v4, v4, 5, v4
	v_mov_b32_e32 v6, 0xaccf6200
	v_add_u32_e32 v5, 0xe9f8cc1d, v4
	v_lshl_add_u32 v4, v4, 9, v6
	v_xor_b32_e32 v4, v5, v4
	v_lshlrev_b32_e32 v5, 3, v4
	s_mov_b32 s10, 0xfd7046c5
	v_add3_u32 v4, v4, v5, s10
	v_xor_b32_sdwa v4, v4, v4 dst_sel:DWORD dst_unused:UNUSED_PAD src0_sel:DWORD src1_sel:WORD_1
	v_xor_b32_e32 v4, 0xb55a4f09, v4
	v_mul_hi_u32 v5, v4, 3
	s_brev_b32 s10, -2
	s_movk_i32 s14, 0x2710
	s_mov_b32 s15, 0xbc8f1391
	v_sub_u32_e32 v6, v4, v5
	v_lshrrev_b32_e32 v6, 1, v6
	v_add_u32_e32 v5, v6, v5
	v_lshrrev_b32_e32 v5, 30, v5
	v_mul_lo_u32 v6, v5, s10
	v_mov_b32_e32 v5, 0
	s_mov_b32 s16, 0xbc8f
	s_brev_b32 s17, 12
	v_sub_u32_e32 v4, v4, v6
	v_max_u32_e32 v6, 1, v4
	s_mov_b32 s18, 0xf800000
	v_mov_b32_e32 v4, 0x260
.LBB31_134:                             ; =>This Inner Loop Header: Depth=1
	v_mul_hi_u32 v7, v6, s15
	v_add_f32_e32 v8, 1.0, v5
	s_add_i32 s14, s14, -2
	s_cmp_lg_u32 s14, 0
	v_lshrrev_b32_e32 v7, 15, v7
	v_mul_u32_u24_e32 v9, 0xadc8, v7
	v_sub_u32_e32 v6, v6, v9
	v_mul_lo_u32 v6, v6, s16
	v_mul_u32_u24_e32 v7, 0xd47, v7
	v_xor_b32_e32 v9, 0x7fffffff, v7
	v_sub_u32_e32 v10, 0, v7
	v_cmp_lt_u32_e32 vcc, v6, v7
	v_cndmask_b32_e32 v7, v10, v9, vcc
	v_add_u32_e32 v6, v7, v6
	v_mul_hi_u32 v9, v6, s15
	v_add_u32_e32 v7, -1, v6
	v_cvt_f32_u32_e32 v7, v7
	v_lshrrev_b32_e32 v9, 15, v9
	v_mul_u32_u24_e32 v10, 0xadc8, v9
	v_sub_u32_e32 v6, v6, v10
	v_mul_lo_u32 v6, v6, s16
	v_mul_u32_u24_e32 v9, 0xd47, v9
	v_xor_b32_e32 v10, 0x7fffffff, v9
	v_sub_u32_e32 v11, 0, v9
	v_cmp_lt_u32_e32 vcc, v6, v9
	v_cndmask_b32_e32 v9, v11, v10, vcc
	v_add_u32_e32 v6, v9, v6
	v_mul_hi_u32 v10, v6, s15
	v_add_u32_e32 v9, -1, v6
	v_cvt_f32_u32_e32 v9, v9
	v_fma_f32 v7, v7, s17, 0
	v_lshrrev_b32_e32 v10, 15, v10
	v_mul_u32_u24_e32 v11, 0xadc8, v10
	v_fma_f32 v9, v9, s17, 0
	v_sub_u32_e32 v6, v6, v11
	v_mul_f32_e32 v9, v9, v9
	v_mul_lo_u32 v6, v6, s16
	v_fmac_f32_e32 v9, v7, v7
	v_mul_f32_e32 v7, 0x4f800000, v9
	v_cmp_gt_f32_e32 vcc, s18, v9
	v_mul_u32_u24_e32 v10, 0xd47, v10
	v_cndmask_b32_e32 v7, v9, v7, vcc
	v_xor_b32_e32 v11, 0x7fffffff, v10
	v_sub_u32_e32 v12, 0, v10
	v_sqrt_f32_e32 v9, v7
	v_cmp_lt_u32_e64 s[10:11], v6, v10
	v_cndmask_b32_e64 v10, v12, v11, s[10:11]
	v_add_u32_e32 v6, v10, v6
	v_mul_hi_u32 v11, v6, s15
	v_add_u32_e32 v12, -1, v9
	v_add_u32_e32 v13, 1, v9
	v_fma_f32 v14, -v12, v9, v7
	v_fma_f32 v15, -v13, v9, v7
	v_cmp_ge_f32_e64 s[10:11], 0, v14
	v_cndmask_b32_e64 v9, v9, v12, s[10:11]
	v_cmp_lt_f32_e64 s[10:11], 0, v15
	v_lshrrev_b32_e32 v11, 15, v11
	v_cndmask_b32_e64 v9, v9, v13, s[10:11]
	v_mul_u32_u24_e32 v13, 0xadc8, v11
	v_add_u32_e32 v10, -1, v6
	v_sub_u32_e32 v6, v6, v13
	v_mul_f32_e32 v12, 0x37800000, v9
	v_mul_lo_u32 v6, v6, s16
	v_cndmask_b32_e32 v9, v9, v12, vcc
	v_cmp_class_f32_e32 vcc, v7, v4
	v_cndmask_b32_e32 v7, v9, v7, vcc
	v_mul_u32_u24_e32 v11, 0xd47, v11
	v_cmp_nge_f32_e32 vcc, 1.0, v7
	v_xor_b32_e32 v12, 0x7fffffff, v11
	v_sub_u32_e32 v13, 0, v11
	v_cndmask_b32_e32 v5, v8, v5, vcc
	v_cmp_lt_u32_e32 vcc, v6, v11
	v_cndmask_b32_e32 v8, v13, v12, vcc
	v_add_u32_e32 v6, v8, v6
	v_add_u32_e32 v8, -1, v6
	v_cvt_f32_u32_e32 v8, v8
	v_cvt_f32_u32_e32 v10, v10
	v_add_f32_e32 v7, 1.0, v5
	v_fma_f32 v8, v8, s17, 0
	v_fma_f32 v10, v10, s17, 0
	v_mul_f32_e32 v8, v8, v8
	v_fmac_f32_e32 v8, v10, v10
	v_mul_f32_e32 v9, 0x4f800000, v8
	v_cmp_gt_f32_e32 vcc, s18, v8
	v_cndmask_b32_e32 v8, v8, v9, vcc
	v_sqrt_f32_e32 v9, v8
	v_add_u32_e32 v10, -1, v9
	v_add_u32_e32 v11, 1, v9
	v_fma_f32 v12, -v10, v9, v8
	v_fma_f32 v13, -v11, v9, v8
	v_cmp_ge_f32_e64 s[10:11], 0, v12
	v_cndmask_b32_e64 v9, v9, v10, s[10:11]
	v_cmp_lt_f32_e64 s[10:11], 0, v13
	v_cndmask_b32_e64 v9, v9, v11, s[10:11]
	v_mul_f32_e32 v10, 0x37800000, v9
	v_cndmask_b32_e32 v9, v9, v10, vcc
	v_cmp_class_f32_e32 vcc, v8, v4
	v_cndmask_b32_e32 v8, v9, v8, vcc
	v_cmp_nge_f32_e32 vcc, 1.0, v8
	v_cndmask_b32_e32 v5, v7, v5, vcc
	s_cbranch_scc1 .LBB31_134
; %bb.135:
	v_mul_f32_e32 v4, 4.0, v5
	s_mov_b32 s14, 0x461c4000
	v_div_scale_f32 v5, s[10:11], s14, s14, v4
	v_div_scale_f32 v6, vcc, v4, s14, v4
	v_rcp_f32_e32 v7, v5
	v_fma_f32 v8, -v5, v7, 1.0
	v_fmac_f32_e32 v7, v8, v7
	v_mul_f32_e32 v8, v6, v7
	v_fma_f32 v9, -v5, v8, v6
	v_fmac_f32_e32 v8, v9, v7
	v_fma_f32 v5, -v5, v8, v6
	v_div_fmas_f32 v5, v5, v7, v8
	v_div_fixup_f32 v4, v5, s14, v4
.LBB31_136:
	s_or_b64 exec, exec, s[12:13]
	v_or_b32_e32 v6, 0x400, v0
	v_cmp_gt_u32_e64 s[10:11], s80, v6
                                        ; implicit-def: $vgpr5
	s_and_saveexec_b64 s[14:15], s[10:11]
	s_cbranch_execz .LBB31_140
; %bb.137:
	v_add_u32_e32 v5, s33, v6
	v_lshlrev_b32_e32 v6, 12, v5
	s_mov_b32 s12, 0x7ed55d16
	v_add3_u32 v5, v5, v6, s12
	v_lshrrev_b32_e32 v6, 19, v5
	v_xor_b32_e32 v5, v5, v6
	v_xor_b32_e32 v5, 0xc761c23c, v5
	v_lshl_add_u32 v5, v5, 5, v5
	v_mov_b32_e32 v7, 0xaccf6200
	v_add_u32_e32 v6, 0xe9f8cc1d, v5
	v_lshl_add_u32 v5, v5, 9, v7
	v_xor_b32_e32 v5, v6, v5
	v_lshlrev_b32_e32 v6, 3, v5
	s_mov_b32 s12, 0xfd7046c5
	v_add3_u32 v5, v5, v6, s12
	v_xor_b32_sdwa v5, v5, v5 dst_sel:DWORD dst_unused:UNUSED_PAD src0_sel:DWORD src1_sel:WORD_1
	v_xor_b32_e32 v5, 0xb55a4f09, v5
	v_mul_hi_u32 v6, v5, 3
	s_brev_b32 s12, -2
	s_movk_i32 s16, 0x2710
	s_mov_b32 s17, 0xbc8f1391
	v_sub_u32_e32 v7, v5, v6
	v_lshrrev_b32_e32 v7, 1, v7
	v_add_u32_e32 v6, v7, v6
	v_lshrrev_b32_e32 v6, 30, v6
	v_mul_lo_u32 v7, v6, s12
	v_mov_b32_e32 v6, 0
	s_mov_b32 s18, 0xbc8f
	s_brev_b32 s19, 12
	v_sub_u32_e32 v5, v5, v7
	v_max_u32_e32 v7, 1, v5
	s_mov_b32 s20, 0xf800000
	v_mov_b32_e32 v5, 0x260
.LBB31_138:                             ; =>This Inner Loop Header: Depth=1
	v_mul_hi_u32 v8, v7, s17
	v_add_f32_e32 v9, 1.0, v6
	s_add_i32 s16, s16, -2
	s_cmp_lg_u32 s16, 0
	v_lshrrev_b32_e32 v8, 15, v8
	v_mul_u32_u24_e32 v10, 0xadc8, v8
	v_sub_u32_e32 v7, v7, v10
	v_mul_lo_u32 v7, v7, s18
	v_mul_u32_u24_e32 v8, 0xd47, v8
	v_xor_b32_e32 v10, 0x7fffffff, v8
	v_sub_u32_e32 v11, 0, v8
	v_cmp_lt_u32_e32 vcc, v7, v8
	v_cndmask_b32_e32 v8, v11, v10, vcc
	v_add_u32_e32 v7, v8, v7
	v_mul_hi_u32 v10, v7, s17
	v_add_u32_e32 v8, -1, v7
	v_cvt_f32_u32_e32 v8, v8
	v_lshrrev_b32_e32 v10, 15, v10
	v_mul_u32_u24_e32 v11, 0xadc8, v10
	v_sub_u32_e32 v7, v7, v11
	v_mul_lo_u32 v7, v7, s18
	v_mul_u32_u24_e32 v10, 0xd47, v10
	v_xor_b32_e32 v11, 0x7fffffff, v10
	v_sub_u32_e32 v12, 0, v10
	v_cmp_lt_u32_e32 vcc, v7, v10
	v_cndmask_b32_e32 v10, v12, v11, vcc
	v_add_u32_e32 v7, v10, v7
	v_mul_hi_u32 v11, v7, s17
	v_add_u32_e32 v10, -1, v7
	v_cvt_f32_u32_e32 v10, v10
	v_fma_f32 v8, v8, s19, 0
	v_lshrrev_b32_e32 v11, 15, v11
	v_mul_u32_u24_e32 v12, 0xadc8, v11
	v_fma_f32 v10, v10, s19, 0
	v_sub_u32_e32 v7, v7, v12
	v_mul_f32_e32 v10, v10, v10
	v_mul_lo_u32 v7, v7, s18
	v_fmac_f32_e32 v10, v8, v8
	v_mul_f32_e32 v8, 0x4f800000, v10
	v_cmp_gt_f32_e32 vcc, s20, v10
	v_mul_u32_u24_e32 v11, 0xd47, v11
	v_cndmask_b32_e32 v8, v10, v8, vcc
	v_xor_b32_e32 v12, 0x7fffffff, v11
	v_sub_u32_e32 v13, 0, v11
	v_sqrt_f32_e32 v10, v8
	v_cmp_lt_u32_e64 s[12:13], v7, v11
	v_cndmask_b32_e64 v11, v13, v12, s[12:13]
	v_add_u32_e32 v7, v11, v7
	v_mul_hi_u32 v12, v7, s17
	v_add_u32_e32 v13, -1, v10
	v_add_u32_e32 v14, 1, v10
	v_fma_f32 v15, -v13, v10, v8
	v_fma_f32 v16, -v14, v10, v8
	v_cmp_ge_f32_e64 s[12:13], 0, v15
	v_cndmask_b32_e64 v10, v10, v13, s[12:13]
	v_cmp_lt_f32_e64 s[12:13], 0, v16
	v_lshrrev_b32_e32 v12, 15, v12
	v_cndmask_b32_e64 v10, v10, v14, s[12:13]
	v_mul_u32_u24_e32 v14, 0xadc8, v12
	v_add_u32_e32 v11, -1, v7
	v_sub_u32_e32 v7, v7, v14
	v_mul_f32_e32 v13, 0x37800000, v10
	v_mul_lo_u32 v7, v7, s18
	v_cndmask_b32_e32 v10, v10, v13, vcc
	v_cmp_class_f32_e32 vcc, v8, v5
	v_cndmask_b32_e32 v8, v10, v8, vcc
	v_mul_u32_u24_e32 v12, 0xd47, v12
	v_cmp_nge_f32_e32 vcc, 1.0, v8
	v_xor_b32_e32 v13, 0x7fffffff, v12
	v_sub_u32_e32 v14, 0, v12
	v_cndmask_b32_e32 v6, v9, v6, vcc
	v_cmp_lt_u32_e32 vcc, v7, v12
	v_cndmask_b32_e32 v9, v14, v13, vcc
	v_add_u32_e32 v7, v9, v7
	v_add_u32_e32 v9, -1, v7
	v_cvt_f32_u32_e32 v9, v9
	v_cvt_f32_u32_e32 v11, v11
	v_add_f32_e32 v8, 1.0, v6
	v_fma_f32 v9, v9, s19, 0
	v_fma_f32 v11, v11, s19, 0
	v_mul_f32_e32 v9, v9, v9
	v_fmac_f32_e32 v9, v11, v11
	v_mul_f32_e32 v10, 0x4f800000, v9
	v_cmp_gt_f32_e32 vcc, s20, v9
	v_cndmask_b32_e32 v9, v9, v10, vcc
	v_sqrt_f32_e32 v10, v9
	v_add_u32_e32 v11, -1, v10
	v_add_u32_e32 v12, 1, v10
	v_fma_f32 v13, -v11, v10, v9
	v_fma_f32 v14, -v12, v10, v9
	v_cmp_ge_f32_e64 s[12:13], 0, v13
	v_cndmask_b32_e64 v10, v10, v11, s[12:13]
	v_cmp_lt_f32_e64 s[12:13], 0, v14
	v_cndmask_b32_e64 v10, v10, v12, s[12:13]
	v_mul_f32_e32 v11, 0x37800000, v10
	v_cndmask_b32_e32 v10, v10, v11, vcc
	v_cmp_class_f32_e32 vcc, v9, v5
	v_cndmask_b32_e32 v9, v10, v9, vcc
	v_cmp_nge_f32_e32 vcc, 1.0, v9
	v_cndmask_b32_e32 v6, v8, v6, vcc
	s_cbranch_scc1 .LBB31_138
; %bb.139:
	v_mul_f32_e32 v5, 4.0, v6
	s_mov_b32 s16, 0x461c4000
	v_div_scale_f32 v6, s[12:13], s16, s16, v5
	v_div_scale_f32 v7, vcc, v5, s16, v5
	v_rcp_f32_e32 v8, v6
	v_fma_f32 v9, -v6, v8, 1.0
	v_fmac_f32_e32 v8, v9, v8
	v_mul_f32_e32 v9, v7, v8
	v_fma_f32 v10, -v6, v9, v7
	v_fmac_f32_e32 v9, v10, v8
	v_fma_f32 v6, -v6, v9, v7
	v_div_fmas_f32 v6, v6, v8, v9
	v_div_fixup_f32 v5, v6, s16, v5
.LBB31_140:
	s_or_b64 exec, exec, s[14:15]
	v_or_b32_e32 v7, 0x500, v0
	v_cmp_gt_u32_e64 s[12:13], s80, v7
                                        ; implicit-def: $vgpr6
	s_and_saveexec_b64 s[16:17], s[12:13]
	s_cbranch_execz .LBB31_144
; %bb.141:
	v_add_u32_e32 v6, s33, v7
	v_lshlrev_b32_e32 v7, 12, v6
	s_mov_b32 s14, 0x7ed55d16
	v_add3_u32 v6, v6, v7, s14
	v_lshrrev_b32_e32 v7, 19, v6
	v_xor_b32_e32 v6, v6, v7
	v_xor_b32_e32 v6, 0xc761c23c, v6
	v_lshl_add_u32 v6, v6, 5, v6
	v_mov_b32_e32 v8, 0xaccf6200
	v_add_u32_e32 v7, 0xe9f8cc1d, v6
	v_lshl_add_u32 v6, v6, 9, v8
	v_xor_b32_e32 v6, v7, v6
	v_lshlrev_b32_e32 v7, 3, v6
	s_mov_b32 s14, 0xfd7046c5
	v_add3_u32 v6, v6, v7, s14
	v_xor_b32_sdwa v6, v6, v6 dst_sel:DWORD dst_unused:UNUSED_PAD src0_sel:DWORD src1_sel:WORD_1
	v_xor_b32_e32 v6, 0xb55a4f09, v6
	v_mul_hi_u32 v7, v6, 3
	s_brev_b32 s14, -2
	s_movk_i32 s18, 0x2710
	s_mov_b32 s19, 0xbc8f1391
	v_sub_u32_e32 v8, v6, v7
	v_lshrrev_b32_e32 v8, 1, v8
	v_add_u32_e32 v7, v8, v7
	v_lshrrev_b32_e32 v7, 30, v7
	v_mul_lo_u32 v8, v7, s14
	v_mov_b32_e32 v7, 0
	s_mov_b32 s20, 0xbc8f
	s_brev_b32 s21, 12
	v_sub_u32_e32 v6, v6, v8
	v_max_u32_e32 v8, 1, v6
	s_mov_b32 s22, 0xf800000
	v_mov_b32_e32 v6, 0x260
.LBB31_142:                             ; =>This Inner Loop Header: Depth=1
	v_mul_hi_u32 v9, v8, s19
	v_add_f32_e32 v10, 1.0, v7
	s_add_i32 s18, s18, -2
	s_cmp_lg_u32 s18, 0
	v_lshrrev_b32_e32 v9, 15, v9
	v_mul_u32_u24_e32 v11, 0xadc8, v9
	v_sub_u32_e32 v8, v8, v11
	v_mul_lo_u32 v8, v8, s20
	v_mul_u32_u24_e32 v9, 0xd47, v9
	v_xor_b32_e32 v11, 0x7fffffff, v9
	v_sub_u32_e32 v12, 0, v9
	v_cmp_lt_u32_e32 vcc, v8, v9
	v_cndmask_b32_e32 v9, v12, v11, vcc
	v_add_u32_e32 v8, v9, v8
	v_mul_hi_u32 v11, v8, s19
	v_add_u32_e32 v9, -1, v8
	v_cvt_f32_u32_e32 v9, v9
	v_lshrrev_b32_e32 v11, 15, v11
	v_mul_u32_u24_e32 v12, 0xadc8, v11
	v_sub_u32_e32 v8, v8, v12
	v_mul_lo_u32 v8, v8, s20
	v_mul_u32_u24_e32 v11, 0xd47, v11
	v_xor_b32_e32 v12, 0x7fffffff, v11
	v_sub_u32_e32 v13, 0, v11
	v_cmp_lt_u32_e32 vcc, v8, v11
	v_cndmask_b32_e32 v11, v13, v12, vcc
	v_add_u32_e32 v8, v11, v8
	v_mul_hi_u32 v12, v8, s19
	v_add_u32_e32 v11, -1, v8
	v_cvt_f32_u32_e32 v11, v11
	v_fma_f32 v9, v9, s21, 0
	v_lshrrev_b32_e32 v12, 15, v12
	v_mul_u32_u24_e32 v13, 0xadc8, v12
	v_fma_f32 v11, v11, s21, 0
	v_sub_u32_e32 v8, v8, v13
	v_mul_f32_e32 v11, v11, v11
	v_mul_lo_u32 v8, v8, s20
	v_fmac_f32_e32 v11, v9, v9
	v_mul_f32_e32 v9, 0x4f800000, v11
	v_cmp_gt_f32_e32 vcc, s22, v11
	v_mul_u32_u24_e32 v12, 0xd47, v12
	v_cndmask_b32_e32 v9, v11, v9, vcc
	v_xor_b32_e32 v13, 0x7fffffff, v12
	v_sub_u32_e32 v14, 0, v12
	v_sqrt_f32_e32 v11, v9
	v_cmp_lt_u32_e64 s[14:15], v8, v12
	v_cndmask_b32_e64 v12, v14, v13, s[14:15]
	v_add_u32_e32 v8, v12, v8
	v_mul_hi_u32 v13, v8, s19
	v_add_u32_e32 v14, -1, v11
	v_add_u32_e32 v15, 1, v11
	v_fma_f32 v16, -v14, v11, v9
	v_fma_f32 v17, -v15, v11, v9
	v_cmp_ge_f32_e64 s[14:15], 0, v16
	v_cndmask_b32_e64 v11, v11, v14, s[14:15]
	v_cmp_lt_f32_e64 s[14:15], 0, v17
	v_lshrrev_b32_e32 v13, 15, v13
	v_cndmask_b32_e64 v11, v11, v15, s[14:15]
	v_mul_u32_u24_e32 v15, 0xadc8, v13
	v_add_u32_e32 v12, -1, v8
	v_sub_u32_e32 v8, v8, v15
	v_mul_f32_e32 v14, 0x37800000, v11
	v_mul_lo_u32 v8, v8, s20
	v_cndmask_b32_e32 v11, v11, v14, vcc
	v_cmp_class_f32_e32 vcc, v9, v6
	v_cndmask_b32_e32 v9, v11, v9, vcc
	v_mul_u32_u24_e32 v13, 0xd47, v13
	v_cmp_nge_f32_e32 vcc, 1.0, v9
	v_xor_b32_e32 v14, 0x7fffffff, v13
	v_sub_u32_e32 v15, 0, v13
	v_cndmask_b32_e32 v7, v10, v7, vcc
	v_cmp_lt_u32_e32 vcc, v8, v13
	v_cndmask_b32_e32 v10, v15, v14, vcc
	v_add_u32_e32 v8, v10, v8
	v_add_u32_e32 v10, -1, v8
	v_cvt_f32_u32_e32 v10, v10
	v_cvt_f32_u32_e32 v12, v12
	v_add_f32_e32 v9, 1.0, v7
	v_fma_f32 v10, v10, s21, 0
	v_fma_f32 v12, v12, s21, 0
	v_mul_f32_e32 v10, v10, v10
	v_fmac_f32_e32 v10, v12, v12
	v_mul_f32_e32 v11, 0x4f800000, v10
	v_cmp_gt_f32_e32 vcc, s22, v10
	v_cndmask_b32_e32 v10, v10, v11, vcc
	v_sqrt_f32_e32 v11, v10
	v_add_u32_e32 v12, -1, v11
	v_add_u32_e32 v13, 1, v11
	v_fma_f32 v14, -v12, v11, v10
	v_fma_f32 v15, -v13, v11, v10
	v_cmp_ge_f32_e64 s[14:15], 0, v14
	v_cndmask_b32_e64 v11, v11, v12, s[14:15]
	v_cmp_lt_f32_e64 s[14:15], 0, v15
	v_cndmask_b32_e64 v11, v11, v13, s[14:15]
	v_mul_f32_e32 v12, 0x37800000, v11
	v_cndmask_b32_e32 v11, v11, v12, vcc
	v_cmp_class_f32_e32 vcc, v10, v6
	v_cndmask_b32_e32 v10, v11, v10, vcc
	v_cmp_nge_f32_e32 vcc, 1.0, v10
	v_cndmask_b32_e32 v7, v9, v7, vcc
	s_cbranch_scc1 .LBB31_142
; %bb.143:
	v_mul_f32_e32 v6, 4.0, v7
	s_mov_b32 s18, 0x461c4000
	v_div_scale_f32 v7, s[14:15], s18, s18, v6
	v_div_scale_f32 v8, vcc, v6, s18, v6
	v_rcp_f32_e32 v9, v7
	v_fma_f32 v10, -v7, v9, 1.0
	v_fmac_f32_e32 v9, v10, v9
	v_mul_f32_e32 v10, v8, v9
	v_fma_f32 v11, -v7, v10, v8
	v_fmac_f32_e32 v10, v11, v9
	v_fma_f32 v7, -v7, v10, v8
	v_div_fmas_f32 v7, v7, v9, v10
	v_div_fixup_f32 v6, v7, s18, v6
.LBB31_144:
	s_or_b64 exec, exec, s[16:17]
	v_or_b32_e32 v8, 0x600, v0
	v_cmp_gt_u32_e64 s[14:15], s80, v8
                                        ; implicit-def: $vgpr7
	s_and_saveexec_b64 s[18:19], s[14:15]
	s_cbranch_execz .LBB31_148
; %bb.145:
	v_add_u32_e32 v7, s33, v8
	v_lshlrev_b32_e32 v8, 12, v7
	s_mov_b32 s16, 0x7ed55d16
	v_add3_u32 v7, v7, v8, s16
	v_lshrrev_b32_e32 v8, 19, v7
	v_xor_b32_e32 v7, v7, v8
	v_xor_b32_e32 v7, 0xc761c23c, v7
	v_lshl_add_u32 v7, v7, 5, v7
	v_mov_b32_e32 v9, 0xaccf6200
	v_add_u32_e32 v8, 0xe9f8cc1d, v7
	v_lshl_add_u32 v7, v7, 9, v9
	v_xor_b32_e32 v7, v8, v7
	v_lshlrev_b32_e32 v8, 3, v7
	s_mov_b32 s16, 0xfd7046c5
	v_add3_u32 v7, v7, v8, s16
	v_xor_b32_sdwa v7, v7, v7 dst_sel:DWORD dst_unused:UNUSED_PAD src0_sel:DWORD src1_sel:WORD_1
	v_xor_b32_e32 v7, 0xb55a4f09, v7
	v_mul_hi_u32 v8, v7, 3
	s_brev_b32 s16, -2
	s_movk_i32 s20, 0x2710
	s_mov_b32 s21, 0xbc8f1391
	v_sub_u32_e32 v9, v7, v8
	v_lshrrev_b32_e32 v9, 1, v9
	v_add_u32_e32 v8, v9, v8
	v_lshrrev_b32_e32 v8, 30, v8
	v_mul_lo_u32 v9, v8, s16
	v_mov_b32_e32 v8, 0
	s_mov_b32 s22, 0xbc8f
	s_brev_b32 s23, 12
	v_sub_u32_e32 v7, v7, v9
	v_max_u32_e32 v9, 1, v7
	s_mov_b32 s24, 0xf800000
	v_mov_b32_e32 v7, 0x260
.LBB31_146:                             ; =>This Inner Loop Header: Depth=1
	v_mul_hi_u32 v10, v9, s21
	v_add_f32_e32 v11, 1.0, v8
	s_add_i32 s20, s20, -2
	s_cmp_lg_u32 s20, 0
	v_lshrrev_b32_e32 v10, 15, v10
	v_mul_u32_u24_e32 v12, 0xadc8, v10
	v_sub_u32_e32 v9, v9, v12
	v_mul_lo_u32 v9, v9, s22
	v_mul_u32_u24_e32 v10, 0xd47, v10
	v_xor_b32_e32 v12, 0x7fffffff, v10
	v_sub_u32_e32 v13, 0, v10
	v_cmp_lt_u32_e32 vcc, v9, v10
	v_cndmask_b32_e32 v10, v13, v12, vcc
	v_add_u32_e32 v9, v10, v9
	v_mul_hi_u32 v12, v9, s21
	v_add_u32_e32 v10, -1, v9
	v_cvt_f32_u32_e32 v10, v10
	v_lshrrev_b32_e32 v12, 15, v12
	v_mul_u32_u24_e32 v13, 0xadc8, v12
	v_sub_u32_e32 v9, v9, v13
	v_mul_lo_u32 v9, v9, s22
	v_mul_u32_u24_e32 v12, 0xd47, v12
	v_xor_b32_e32 v13, 0x7fffffff, v12
	v_sub_u32_e32 v14, 0, v12
	v_cmp_lt_u32_e32 vcc, v9, v12
	v_cndmask_b32_e32 v12, v14, v13, vcc
	v_add_u32_e32 v9, v12, v9
	v_mul_hi_u32 v13, v9, s21
	v_add_u32_e32 v12, -1, v9
	v_cvt_f32_u32_e32 v12, v12
	v_fma_f32 v10, v10, s23, 0
	v_lshrrev_b32_e32 v13, 15, v13
	v_mul_u32_u24_e32 v14, 0xadc8, v13
	v_fma_f32 v12, v12, s23, 0
	v_sub_u32_e32 v9, v9, v14
	v_mul_f32_e32 v12, v12, v12
	v_mul_lo_u32 v9, v9, s22
	v_fmac_f32_e32 v12, v10, v10
	v_mul_f32_e32 v10, 0x4f800000, v12
	v_cmp_gt_f32_e32 vcc, s24, v12
	v_mul_u32_u24_e32 v13, 0xd47, v13
	v_cndmask_b32_e32 v10, v12, v10, vcc
	v_xor_b32_e32 v14, 0x7fffffff, v13
	v_sub_u32_e32 v15, 0, v13
	v_sqrt_f32_e32 v12, v10
	v_cmp_lt_u32_e64 s[16:17], v9, v13
	v_cndmask_b32_e64 v13, v15, v14, s[16:17]
	v_add_u32_e32 v9, v13, v9
	v_mul_hi_u32 v14, v9, s21
	v_add_u32_e32 v15, -1, v12
	v_add_u32_e32 v16, 1, v12
	v_fma_f32 v17, -v15, v12, v10
	v_fma_f32 v18, -v16, v12, v10
	v_cmp_ge_f32_e64 s[16:17], 0, v17
	v_cndmask_b32_e64 v12, v12, v15, s[16:17]
	v_cmp_lt_f32_e64 s[16:17], 0, v18
	v_lshrrev_b32_e32 v14, 15, v14
	v_cndmask_b32_e64 v12, v12, v16, s[16:17]
	v_mul_u32_u24_e32 v16, 0xadc8, v14
	v_add_u32_e32 v13, -1, v9
	v_sub_u32_e32 v9, v9, v16
	v_mul_f32_e32 v15, 0x37800000, v12
	v_mul_lo_u32 v9, v9, s22
	v_cndmask_b32_e32 v12, v12, v15, vcc
	v_cmp_class_f32_e32 vcc, v10, v7
	v_cndmask_b32_e32 v10, v12, v10, vcc
	v_mul_u32_u24_e32 v14, 0xd47, v14
	v_cmp_nge_f32_e32 vcc, 1.0, v10
	v_xor_b32_e32 v15, 0x7fffffff, v14
	v_sub_u32_e32 v16, 0, v14
	v_cndmask_b32_e32 v8, v11, v8, vcc
	v_cmp_lt_u32_e32 vcc, v9, v14
	v_cndmask_b32_e32 v11, v16, v15, vcc
	v_add_u32_e32 v9, v11, v9
	v_add_u32_e32 v11, -1, v9
	v_cvt_f32_u32_e32 v11, v11
	v_cvt_f32_u32_e32 v13, v13
	v_add_f32_e32 v10, 1.0, v8
	v_fma_f32 v11, v11, s23, 0
	v_fma_f32 v13, v13, s23, 0
	v_mul_f32_e32 v11, v11, v11
	v_fmac_f32_e32 v11, v13, v13
	v_mul_f32_e32 v12, 0x4f800000, v11
	v_cmp_gt_f32_e32 vcc, s24, v11
	v_cndmask_b32_e32 v11, v11, v12, vcc
	v_sqrt_f32_e32 v12, v11
	v_add_u32_e32 v13, -1, v12
	v_add_u32_e32 v14, 1, v12
	v_fma_f32 v15, -v13, v12, v11
	v_fma_f32 v16, -v14, v12, v11
	v_cmp_ge_f32_e64 s[16:17], 0, v15
	v_cndmask_b32_e64 v12, v12, v13, s[16:17]
	v_cmp_lt_f32_e64 s[16:17], 0, v16
	v_cndmask_b32_e64 v12, v12, v14, s[16:17]
	v_mul_f32_e32 v13, 0x37800000, v12
	v_cndmask_b32_e32 v12, v12, v13, vcc
	v_cmp_class_f32_e32 vcc, v11, v7
	v_cndmask_b32_e32 v11, v12, v11, vcc
	v_cmp_nge_f32_e32 vcc, 1.0, v11
	v_cndmask_b32_e32 v8, v10, v8, vcc
	s_cbranch_scc1 .LBB31_146
; %bb.147:
	v_mul_f32_e32 v7, 4.0, v8
	s_mov_b32 s20, 0x461c4000
	v_div_scale_f32 v8, s[16:17], s20, s20, v7
	v_div_scale_f32 v9, vcc, v7, s20, v7
	v_rcp_f32_e32 v10, v8
	v_fma_f32 v11, -v8, v10, 1.0
	v_fmac_f32_e32 v10, v11, v10
	v_mul_f32_e32 v11, v9, v10
	v_fma_f32 v12, -v8, v11, v9
	v_fmac_f32_e32 v11, v12, v10
	v_fma_f32 v8, -v8, v11, v9
	v_div_fmas_f32 v8, v8, v10, v11
	v_div_fixup_f32 v7, v8, s20, v7
.LBB31_148:
	s_or_b64 exec, exec, s[18:19]
	v_or_b32_e32 v9, 0x700, v0
	v_cmp_gt_u32_e64 s[16:17], s80, v9
                                        ; implicit-def: $vgpr8
	s_and_saveexec_b64 s[20:21], s[16:17]
	s_cbranch_execz .LBB31_152
; %bb.149:
	v_add_u32_e32 v8, s33, v9
	v_lshlrev_b32_e32 v9, 12, v8
	s_mov_b32 s18, 0x7ed55d16
	v_add3_u32 v8, v8, v9, s18
	v_lshrrev_b32_e32 v9, 19, v8
	v_xor_b32_e32 v8, v8, v9
	v_xor_b32_e32 v8, 0xc761c23c, v8
	v_lshl_add_u32 v8, v8, 5, v8
	v_mov_b32_e32 v10, 0xaccf6200
	v_add_u32_e32 v9, 0xe9f8cc1d, v8
	v_lshl_add_u32 v8, v8, 9, v10
	v_xor_b32_e32 v8, v9, v8
	v_lshlrev_b32_e32 v9, 3, v8
	s_mov_b32 s18, 0xfd7046c5
	v_add3_u32 v8, v8, v9, s18
	v_xor_b32_sdwa v8, v8, v8 dst_sel:DWORD dst_unused:UNUSED_PAD src0_sel:DWORD src1_sel:WORD_1
	v_xor_b32_e32 v8, 0xb55a4f09, v8
	v_mul_hi_u32 v9, v8, 3
	s_brev_b32 s18, -2
	s_movk_i32 s22, 0x2710
	s_mov_b32 s23, 0xbc8f1391
	v_sub_u32_e32 v10, v8, v9
	v_lshrrev_b32_e32 v10, 1, v10
	v_add_u32_e32 v9, v10, v9
	v_lshrrev_b32_e32 v9, 30, v9
	v_mul_lo_u32 v10, v9, s18
	v_mov_b32_e32 v9, 0
	s_mov_b32 s24, 0xbc8f
	s_brev_b32 s25, 12
	v_sub_u32_e32 v8, v8, v10
	v_max_u32_e32 v10, 1, v8
	s_mov_b32 s26, 0xf800000
	v_mov_b32_e32 v8, 0x260
.LBB31_150:                             ; =>This Inner Loop Header: Depth=1
	v_mul_hi_u32 v11, v10, s23
	v_add_f32_e32 v12, 1.0, v9
	s_add_i32 s22, s22, -2
	s_cmp_lg_u32 s22, 0
	v_lshrrev_b32_e32 v11, 15, v11
	v_mul_u32_u24_e32 v13, 0xadc8, v11
	v_sub_u32_e32 v10, v10, v13
	v_mul_lo_u32 v10, v10, s24
	v_mul_u32_u24_e32 v11, 0xd47, v11
	v_xor_b32_e32 v13, 0x7fffffff, v11
	v_sub_u32_e32 v14, 0, v11
	v_cmp_lt_u32_e32 vcc, v10, v11
	v_cndmask_b32_e32 v11, v14, v13, vcc
	v_add_u32_e32 v10, v11, v10
	v_mul_hi_u32 v13, v10, s23
	v_add_u32_e32 v11, -1, v10
	v_cvt_f32_u32_e32 v11, v11
	v_lshrrev_b32_e32 v13, 15, v13
	v_mul_u32_u24_e32 v14, 0xadc8, v13
	v_sub_u32_e32 v10, v10, v14
	v_mul_lo_u32 v10, v10, s24
	v_mul_u32_u24_e32 v13, 0xd47, v13
	v_xor_b32_e32 v14, 0x7fffffff, v13
	v_sub_u32_e32 v15, 0, v13
	v_cmp_lt_u32_e32 vcc, v10, v13
	v_cndmask_b32_e32 v13, v15, v14, vcc
	v_add_u32_e32 v10, v13, v10
	v_mul_hi_u32 v14, v10, s23
	v_add_u32_e32 v13, -1, v10
	v_cvt_f32_u32_e32 v13, v13
	v_fma_f32 v11, v11, s25, 0
	v_lshrrev_b32_e32 v14, 15, v14
	v_mul_u32_u24_e32 v15, 0xadc8, v14
	v_fma_f32 v13, v13, s25, 0
	v_sub_u32_e32 v10, v10, v15
	v_mul_f32_e32 v13, v13, v13
	v_mul_lo_u32 v10, v10, s24
	v_fmac_f32_e32 v13, v11, v11
	v_mul_f32_e32 v11, 0x4f800000, v13
	v_cmp_gt_f32_e32 vcc, s26, v13
	v_mul_u32_u24_e32 v14, 0xd47, v14
	v_cndmask_b32_e32 v11, v13, v11, vcc
	v_xor_b32_e32 v15, 0x7fffffff, v14
	v_sub_u32_e32 v16, 0, v14
	v_sqrt_f32_e32 v13, v11
	v_cmp_lt_u32_e64 s[18:19], v10, v14
	v_cndmask_b32_e64 v14, v16, v15, s[18:19]
	v_add_u32_e32 v10, v14, v10
	v_mul_hi_u32 v15, v10, s23
	v_add_u32_e32 v16, -1, v13
	v_add_u32_e32 v17, 1, v13
	v_fma_f32 v18, -v16, v13, v11
	v_fma_f32 v19, -v17, v13, v11
	v_cmp_ge_f32_e64 s[18:19], 0, v18
	v_cndmask_b32_e64 v13, v13, v16, s[18:19]
	v_cmp_lt_f32_e64 s[18:19], 0, v19
	v_lshrrev_b32_e32 v15, 15, v15
	v_cndmask_b32_e64 v13, v13, v17, s[18:19]
	v_mul_u32_u24_e32 v17, 0xadc8, v15
	v_add_u32_e32 v14, -1, v10
	v_sub_u32_e32 v10, v10, v17
	v_mul_f32_e32 v16, 0x37800000, v13
	v_mul_lo_u32 v10, v10, s24
	v_cndmask_b32_e32 v13, v13, v16, vcc
	v_cmp_class_f32_e32 vcc, v11, v8
	v_cndmask_b32_e32 v11, v13, v11, vcc
	v_mul_u32_u24_e32 v15, 0xd47, v15
	v_cmp_nge_f32_e32 vcc, 1.0, v11
	v_xor_b32_e32 v16, 0x7fffffff, v15
	v_sub_u32_e32 v17, 0, v15
	v_cndmask_b32_e32 v9, v12, v9, vcc
	v_cmp_lt_u32_e32 vcc, v10, v15
	v_cndmask_b32_e32 v12, v17, v16, vcc
	v_add_u32_e32 v10, v12, v10
	v_add_u32_e32 v12, -1, v10
	v_cvt_f32_u32_e32 v12, v12
	v_cvt_f32_u32_e32 v14, v14
	v_add_f32_e32 v11, 1.0, v9
	v_fma_f32 v12, v12, s25, 0
	v_fma_f32 v14, v14, s25, 0
	v_mul_f32_e32 v12, v12, v12
	v_fmac_f32_e32 v12, v14, v14
	v_mul_f32_e32 v13, 0x4f800000, v12
	v_cmp_gt_f32_e32 vcc, s26, v12
	v_cndmask_b32_e32 v12, v12, v13, vcc
	v_sqrt_f32_e32 v13, v12
	v_add_u32_e32 v14, -1, v13
	v_add_u32_e32 v15, 1, v13
	v_fma_f32 v16, -v14, v13, v12
	v_fma_f32 v17, -v15, v13, v12
	v_cmp_ge_f32_e64 s[18:19], 0, v16
	v_cndmask_b32_e64 v13, v13, v14, s[18:19]
	v_cmp_lt_f32_e64 s[18:19], 0, v17
	v_cndmask_b32_e64 v13, v13, v15, s[18:19]
	v_mul_f32_e32 v14, 0x37800000, v13
	v_cndmask_b32_e32 v13, v13, v14, vcc
	v_cmp_class_f32_e32 vcc, v12, v8
	v_cndmask_b32_e32 v12, v13, v12, vcc
	v_cmp_nge_f32_e32 vcc, 1.0, v12
	v_cndmask_b32_e32 v9, v11, v9, vcc
	s_cbranch_scc1 .LBB31_150
; %bb.151:
	v_mul_f32_e32 v8, 4.0, v9
	s_mov_b32 s22, 0x461c4000
	v_div_scale_f32 v9, s[18:19], s22, s22, v8
	v_div_scale_f32 v10, vcc, v8, s22, v8
	v_rcp_f32_e32 v11, v9
	v_fma_f32 v12, -v9, v11, 1.0
	v_fmac_f32_e32 v11, v12, v11
	v_mul_f32_e32 v12, v10, v11
	v_fma_f32 v13, -v9, v12, v10
	v_fmac_f32_e32 v12, v13, v11
	v_fma_f32 v9, -v9, v12, v10
	v_div_fmas_f32 v9, v9, v11, v12
	v_div_fixup_f32 v8, v9, s22, v8
.LBB31_152:
	s_or_b64 exec, exec, s[20:21]
	v_or_b32_e32 v10, 0x800, v0
	v_cmp_gt_u32_e64 s[18:19], s80, v10
                                        ; implicit-def: $vgpr9
	s_and_saveexec_b64 s[22:23], s[18:19]
	s_cbranch_execz .LBB31_156
; %bb.153:
	v_add_u32_e32 v9, s33, v10
	v_lshlrev_b32_e32 v10, 12, v9
	s_mov_b32 s20, 0x7ed55d16
	v_add3_u32 v9, v9, v10, s20
	v_lshrrev_b32_e32 v10, 19, v9
	v_xor_b32_e32 v9, v9, v10
	v_xor_b32_e32 v9, 0xc761c23c, v9
	v_lshl_add_u32 v9, v9, 5, v9
	v_mov_b32_e32 v11, 0xaccf6200
	v_add_u32_e32 v10, 0xe9f8cc1d, v9
	v_lshl_add_u32 v9, v9, 9, v11
	v_xor_b32_e32 v9, v10, v9
	v_lshlrev_b32_e32 v10, 3, v9
	s_mov_b32 s20, 0xfd7046c5
	v_add3_u32 v9, v9, v10, s20
	v_xor_b32_sdwa v9, v9, v9 dst_sel:DWORD dst_unused:UNUSED_PAD src0_sel:DWORD src1_sel:WORD_1
	v_xor_b32_e32 v9, 0xb55a4f09, v9
	v_mul_hi_u32 v10, v9, 3
	s_brev_b32 s20, -2
	s_movk_i32 s24, 0x2710
	s_mov_b32 s25, 0xbc8f1391
	v_sub_u32_e32 v11, v9, v10
	v_lshrrev_b32_e32 v11, 1, v11
	v_add_u32_e32 v10, v11, v10
	v_lshrrev_b32_e32 v10, 30, v10
	v_mul_lo_u32 v11, v10, s20
	v_mov_b32_e32 v10, 0
	s_mov_b32 s26, 0xbc8f
	s_brev_b32 s27, 12
	v_sub_u32_e32 v9, v9, v11
	v_max_u32_e32 v11, 1, v9
	s_mov_b32 s28, 0xf800000
	v_mov_b32_e32 v9, 0x260
.LBB31_154:                             ; =>This Inner Loop Header: Depth=1
	v_mul_hi_u32 v12, v11, s25
	v_add_f32_e32 v13, 1.0, v10
	s_add_i32 s24, s24, -2
	s_cmp_lg_u32 s24, 0
	v_lshrrev_b32_e32 v12, 15, v12
	v_mul_u32_u24_e32 v14, 0xadc8, v12
	v_sub_u32_e32 v11, v11, v14
	v_mul_lo_u32 v11, v11, s26
	v_mul_u32_u24_e32 v12, 0xd47, v12
	v_xor_b32_e32 v14, 0x7fffffff, v12
	v_sub_u32_e32 v15, 0, v12
	v_cmp_lt_u32_e32 vcc, v11, v12
	v_cndmask_b32_e32 v12, v15, v14, vcc
	v_add_u32_e32 v11, v12, v11
	v_mul_hi_u32 v14, v11, s25
	v_add_u32_e32 v12, -1, v11
	v_cvt_f32_u32_e32 v12, v12
	v_lshrrev_b32_e32 v14, 15, v14
	v_mul_u32_u24_e32 v15, 0xadc8, v14
	v_sub_u32_e32 v11, v11, v15
	v_mul_lo_u32 v11, v11, s26
	v_mul_u32_u24_e32 v14, 0xd47, v14
	v_xor_b32_e32 v15, 0x7fffffff, v14
	v_sub_u32_e32 v16, 0, v14
	v_cmp_lt_u32_e32 vcc, v11, v14
	v_cndmask_b32_e32 v14, v16, v15, vcc
	v_add_u32_e32 v11, v14, v11
	v_mul_hi_u32 v15, v11, s25
	v_add_u32_e32 v14, -1, v11
	v_cvt_f32_u32_e32 v14, v14
	v_fma_f32 v12, v12, s27, 0
	v_lshrrev_b32_e32 v15, 15, v15
	v_mul_u32_u24_e32 v16, 0xadc8, v15
	v_fma_f32 v14, v14, s27, 0
	v_sub_u32_e32 v11, v11, v16
	v_mul_f32_e32 v14, v14, v14
	v_mul_lo_u32 v11, v11, s26
	v_fmac_f32_e32 v14, v12, v12
	v_mul_f32_e32 v12, 0x4f800000, v14
	v_cmp_gt_f32_e32 vcc, s28, v14
	v_mul_u32_u24_e32 v15, 0xd47, v15
	v_cndmask_b32_e32 v12, v14, v12, vcc
	v_xor_b32_e32 v16, 0x7fffffff, v15
	v_sub_u32_e32 v17, 0, v15
	v_sqrt_f32_e32 v14, v12
	v_cmp_lt_u32_e64 s[20:21], v11, v15
	v_cndmask_b32_e64 v15, v17, v16, s[20:21]
	v_add_u32_e32 v11, v15, v11
	v_mul_hi_u32 v16, v11, s25
	v_add_u32_e32 v17, -1, v14
	v_add_u32_e32 v18, 1, v14
	v_fma_f32 v19, -v17, v14, v12
	v_fma_f32 v20, -v18, v14, v12
	v_cmp_ge_f32_e64 s[20:21], 0, v19
	v_cndmask_b32_e64 v14, v14, v17, s[20:21]
	v_cmp_lt_f32_e64 s[20:21], 0, v20
	v_lshrrev_b32_e32 v16, 15, v16
	v_cndmask_b32_e64 v14, v14, v18, s[20:21]
	v_mul_u32_u24_e32 v18, 0xadc8, v16
	v_add_u32_e32 v15, -1, v11
	v_sub_u32_e32 v11, v11, v18
	v_mul_f32_e32 v17, 0x37800000, v14
	v_mul_lo_u32 v11, v11, s26
	v_cndmask_b32_e32 v14, v14, v17, vcc
	v_cmp_class_f32_e32 vcc, v12, v9
	v_cndmask_b32_e32 v12, v14, v12, vcc
	v_mul_u32_u24_e32 v16, 0xd47, v16
	v_cmp_nge_f32_e32 vcc, 1.0, v12
	v_xor_b32_e32 v17, 0x7fffffff, v16
	v_sub_u32_e32 v18, 0, v16
	v_cndmask_b32_e32 v10, v13, v10, vcc
	v_cmp_lt_u32_e32 vcc, v11, v16
	v_cndmask_b32_e32 v13, v18, v17, vcc
	v_add_u32_e32 v11, v13, v11
	v_add_u32_e32 v13, -1, v11
	v_cvt_f32_u32_e32 v13, v13
	v_cvt_f32_u32_e32 v15, v15
	v_add_f32_e32 v12, 1.0, v10
	v_fma_f32 v13, v13, s27, 0
	v_fma_f32 v15, v15, s27, 0
	v_mul_f32_e32 v13, v13, v13
	v_fmac_f32_e32 v13, v15, v15
	v_mul_f32_e32 v14, 0x4f800000, v13
	v_cmp_gt_f32_e32 vcc, s28, v13
	v_cndmask_b32_e32 v13, v13, v14, vcc
	v_sqrt_f32_e32 v14, v13
	v_add_u32_e32 v15, -1, v14
	v_add_u32_e32 v16, 1, v14
	v_fma_f32 v17, -v15, v14, v13
	v_fma_f32 v18, -v16, v14, v13
	v_cmp_ge_f32_e64 s[20:21], 0, v17
	v_cndmask_b32_e64 v14, v14, v15, s[20:21]
	v_cmp_lt_f32_e64 s[20:21], 0, v18
	v_cndmask_b32_e64 v14, v14, v16, s[20:21]
	v_mul_f32_e32 v15, 0x37800000, v14
	v_cndmask_b32_e32 v14, v14, v15, vcc
	v_cmp_class_f32_e32 vcc, v13, v9
	v_cndmask_b32_e32 v13, v14, v13, vcc
	v_cmp_nge_f32_e32 vcc, 1.0, v13
	v_cndmask_b32_e32 v10, v12, v10, vcc
	s_cbranch_scc1 .LBB31_154
; %bb.155:
	v_mul_f32_e32 v9, 4.0, v10
	s_mov_b32 s24, 0x461c4000
	v_div_scale_f32 v10, s[20:21], s24, s24, v9
	v_div_scale_f32 v11, vcc, v9, s24, v9
	v_rcp_f32_e32 v12, v10
	v_fma_f32 v13, -v10, v12, 1.0
	v_fmac_f32_e32 v12, v13, v12
	v_mul_f32_e32 v13, v11, v12
	v_fma_f32 v14, -v10, v13, v11
	v_fmac_f32_e32 v13, v14, v12
	v_fma_f32 v10, -v10, v13, v11
	v_div_fmas_f32 v10, v10, v12, v13
	v_div_fixup_f32 v9, v10, s24, v9
.LBB31_156:
	s_or_b64 exec, exec, s[22:23]
	v_or_b32_e32 v11, 0x900, v0
	v_cmp_gt_u32_e64 s[20:21], s80, v11
                                        ; implicit-def: $vgpr10
	s_and_saveexec_b64 s[24:25], s[20:21]
	s_cbranch_execz .LBB31_160
; %bb.157:
	v_add_u32_e32 v10, s33, v11
	v_lshlrev_b32_e32 v11, 12, v10
	s_mov_b32 s22, 0x7ed55d16
	v_add3_u32 v10, v10, v11, s22
	v_lshrrev_b32_e32 v11, 19, v10
	v_xor_b32_e32 v10, v10, v11
	v_xor_b32_e32 v10, 0xc761c23c, v10
	v_lshl_add_u32 v10, v10, 5, v10
	v_mov_b32_e32 v12, 0xaccf6200
	v_add_u32_e32 v11, 0xe9f8cc1d, v10
	v_lshl_add_u32 v10, v10, 9, v12
	v_xor_b32_e32 v10, v11, v10
	v_lshlrev_b32_e32 v11, 3, v10
	s_mov_b32 s22, 0xfd7046c5
	v_add3_u32 v10, v10, v11, s22
	v_xor_b32_sdwa v10, v10, v10 dst_sel:DWORD dst_unused:UNUSED_PAD src0_sel:DWORD src1_sel:WORD_1
	v_xor_b32_e32 v10, 0xb55a4f09, v10
	v_mul_hi_u32 v11, v10, 3
	s_brev_b32 s22, -2
	s_movk_i32 s26, 0x2710
	s_mov_b32 s27, 0xbc8f1391
	v_sub_u32_e32 v12, v10, v11
	v_lshrrev_b32_e32 v12, 1, v12
	v_add_u32_e32 v11, v12, v11
	v_lshrrev_b32_e32 v11, 30, v11
	v_mul_lo_u32 v12, v11, s22
	v_mov_b32_e32 v11, 0
	s_mov_b32 s28, 0xbc8f
	s_brev_b32 s29, 12
	v_sub_u32_e32 v10, v10, v12
	v_max_u32_e32 v12, 1, v10
	s_mov_b32 s30, 0xf800000
	v_mov_b32_e32 v10, 0x260
.LBB31_158:                             ; =>This Inner Loop Header: Depth=1
	v_mul_hi_u32 v13, v12, s27
	v_add_f32_e32 v14, 1.0, v11
	s_add_i32 s26, s26, -2
	s_cmp_lg_u32 s26, 0
	v_lshrrev_b32_e32 v13, 15, v13
	v_mul_u32_u24_e32 v15, 0xadc8, v13
	v_sub_u32_e32 v12, v12, v15
	v_mul_lo_u32 v12, v12, s28
	v_mul_u32_u24_e32 v13, 0xd47, v13
	v_xor_b32_e32 v15, 0x7fffffff, v13
	v_sub_u32_e32 v16, 0, v13
	v_cmp_lt_u32_e32 vcc, v12, v13
	v_cndmask_b32_e32 v13, v16, v15, vcc
	v_add_u32_e32 v12, v13, v12
	v_mul_hi_u32 v15, v12, s27
	v_add_u32_e32 v13, -1, v12
	v_cvt_f32_u32_e32 v13, v13
	v_lshrrev_b32_e32 v15, 15, v15
	v_mul_u32_u24_e32 v16, 0xadc8, v15
	v_sub_u32_e32 v12, v12, v16
	v_mul_lo_u32 v12, v12, s28
	v_mul_u32_u24_e32 v15, 0xd47, v15
	v_xor_b32_e32 v16, 0x7fffffff, v15
	v_sub_u32_e32 v17, 0, v15
	v_cmp_lt_u32_e32 vcc, v12, v15
	v_cndmask_b32_e32 v15, v17, v16, vcc
	v_add_u32_e32 v12, v15, v12
	v_mul_hi_u32 v16, v12, s27
	v_add_u32_e32 v15, -1, v12
	v_cvt_f32_u32_e32 v15, v15
	v_fma_f32 v13, v13, s29, 0
	v_lshrrev_b32_e32 v16, 15, v16
	v_mul_u32_u24_e32 v17, 0xadc8, v16
	v_fma_f32 v15, v15, s29, 0
	v_sub_u32_e32 v12, v12, v17
	v_mul_f32_e32 v15, v15, v15
	v_mul_lo_u32 v12, v12, s28
	v_fmac_f32_e32 v15, v13, v13
	v_mul_f32_e32 v13, 0x4f800000, v15
	v_cmp_gt_f32_e32 vcc, s30, v15
	v_mul_u32_u24_e32 v16, 0xd47, v16
	v_cndmask_b32_e32 v13, v15, v13, vcc
	v_xor_b32_e32 v17, 0x7fffffff, v16
	v_sub_u32_e32 v18, 0, v16
	v_sqrt_f32_e32 v15, v13
	v_cmp_lt_u32_e64 s[22:23], v12, v16
	v_cndmask_b32_e64 v16, v18, v17, s[22:23]
	v_add_u32_e32 v12, v16, v12
	v_mul_hi_u32 v17, v12, s27
	v_add_u32_e32 v18, -1, v15
	v_add_u32_e32 v19, 1, v15
	v_fma_f32 v20, -v18, v15, v13
	v_fma_f32 v21, -v19, v15, v13
	v_cmp_ge_f32_e64 s[22:23], 0, v20
	v_cndmask_b32_e64 v15, v15, v18, s[22:23]
	v_cmp_lt_f32_e64 s[22:23], 0, v21
	v_lshrrev_b32_e32 v17, 15, v17
	v_cndmask_b32_e64 v15, v15, v19, s[22:23]
	v_mul_u32_u24_e32 v19, 0xadc8, v17
	v_add_u32_e32 v16, -1, v12
	v_sub_u32_e32 v12, v12, v19
	v_mul_f32_e32 v18, 0x37800000, v15
	v_mul_lo_u32 v12, v12, s28
	v_cndmask_b32_e32 v15, v15, v18, vcc
	v_cmp_class_f32_e32 vcc, v13, v10
	v_cndmask_b32_e32 v13, v15, v13, vcc
	v_mul_u32_u24_e32 v17, 0xd47, v17
	v_cmp_nge_f32_e32 vcc, 1.0, v13
	v_xor_b32_e32 v18, 0x7fffffff, v17
	v_sub_u32_e32 v19, 0, v17
	v_cndmask_b32_e32 v11, v14, v11, vcc
	v_cmp_lt_u32_e32 vcc, v12, v17
	v_cndmask_b32_e32 v14, v19, v18, vcc
	v_add_u32_e32 v12, v14, v12
	v_add_u32_e32 v14, -1, v12
	v_cvt_f32_u32_e32 v14, v14
	v_cvt_f32_u32_e32 v16, v16
	v_add_f32_e32 v13, 1.0, v11
	v_fma_f32 v14, v14, s29, 0
	v_fma_f32 v16, v16, s29, 0
	v_mul_f32_e32 v14, v14, v14
	v_fmac_f32_e32 v14, v16, v16
	v_mul_f32_e32 v15, 0x4f800000, v14
	v_cmp_gt_f32_e32 vcc, s30, v14
	v_cndmask_b32_e32 v14, v14, v15, vcc
	v_sqrt_f32_e32 v15, v14
	v_add_u32_e32 v16, -1, v15
	v_add_u32_e32 v17, 1, v15
	v_fma_f32 v18, -v16, v15, v14
	v_fma_f32 v19, -v17, v15, v14
	v_cmp_ge_f32_e64 s[22:23], 0, v18
	v_cndmask_b32_e64 v15, v15, v16, s[22:23]
	v_cmp_lt_f32_e64 s[22:23], 0, v19
	v_cndmask_b32_e64 v15, v15, v17, s[22:23]
	v_mul_f32_e32 v16, 0x37800000, v15
	v_cndmask_b32_e32 v15, v15, v16, vcc
	v_cmp_class_f32_e32 vcc, v14, v10
	v_cndmask_b32_e32 v14, v15, v14, vcc
	v_cmp_nge_f32_e32 vcc, 1.0, v14
	v_cndmask_b32_e32 v11, v13, v11, vcc
	s_cbranch_scc1 .LBB31_158
; %bb.159:
	v_mul_f32_e32 v10, 4.0, v11
	s_mov_b32 s26, 0x461c4000
	v_div_scale_f32 v11, s[22:23], s26, s26, v10
	v_div_scale_f32 v12, vcc, v10, s26, v10
	v_rcp_f32_e32 v13, v11
	v_fma_f32 v14, -v11, v13, 1.0
	v_fmac_f32_e32 v13, v14, v13
	v_mul_f32_e32 v14, v12, v13
	v_fma_f32 v15, -v11, v14, v12
	v_fmac_f32_e32 v14, v15, v13
	v_fma_f32 v11, -v11, v14, v12
	v_div_fmas_f32 v11, v11, v13, v14
	v_div_fixup_f32 v10, v11, s26, v10
.LBB31_160:
	s_or_b64 exec, exec, s[24:25]
	v_or_b32_e32 v12, 0xa00, v0
	v_cmp_gt_u32_e64 s[22:23], s80, v12
                                        ; implicit-def: $vgpr11
	s_and_saveexec_b64 s[26:27], s[22:23]
	s_cbranch_execz .LBB31_164
; %bb.161:
	v_add_u32_e32 v11, s33, v12
	v_lshlrev_b32_e32 v12, 12, v11
	s_mov_b32 s24, 0x7ed55d16
	v_add3_u32 v11, v11, v12, s24
	v_lshrrev_b32_e32 v12, 19, v11
	v_xor_b32_e32 v11, v11, v12
	v_xor_b32_e32 v11, 0xc761c23c, v11
	v_lshl_add_u32 v11, v11, 5, v11
	v_mov_b32_e32 v13, 0xaccf6200
	v_add_u32_e32 v12, 0xe9f8cc1d, v11
	v_lshl_add_u32 v11, v11, 9, v13
	v_xor_b32_e32 v11, v12, v11
	v_lshlrev_b32_e32 v12, 3, v11
	s_mov_b32 s24, 0xfd7046c5
	v_add3_u32 v11, v11, v12, s24
	v_xor_b32_sdwa v11, v11, v11 dst_sel:DWORD dst_unused:UNUSED_PAD src0_sel:DWORD src1_sel:WORD_1
	v_xor_b32_e32 v11, 0xb55a4f09, v11
	v_mul_hi_u32 v12, v11, 3
	s_brev_b32 s24, -2
	s_movk_i32 s28, 0x2710
	s_mov_b32 s29, 0xbc8f1391
	v_sub_u32_e32 v13, v11, v12
	v_lshrrev_b32_e32 v13, 1, v13
	v_add_u32_e32 v12, v13, v12
	v_lshrrev_b32_e32 v12, 30, v12
	v_mul_lo_u32 v13, v12, s24
	v_mov_b32_e32 v12, 0
	s_mov_b32 s30, 0xbc8f
	s_brev_b32 s31, 12
	v_sub_u32_e32 v11, v11, v13
	v_max_u32_e32 v13, 1, v11
	s_mov_b32 s34, 0xf800000
	v_mov_b32_e32 v11, 0x260
.LBB31_162:                             ; =>This Inner Loop Header: Depth=1
	v_mul_hi_u32 v14, v13, s29
	v_add_f32_e32 v15, 1.0, v12
	s_add_i32 s28, s28, -2
	s_cmp_lg_u32 s28, 0
	v_lshrrev_b32_e32 v14, 15, v14
	v_mul_u32_u24_e32 v16, 0xadc8, v14
	v_sub_u32_e32 v13, v13, v16
	v_mul_lo_u32 v13, v13, s30
	v_mul_u32_u24_e32 v14, 0xd47, v14
	v_xor_b32_e32 v16, 0x7fffffff, v14
	v_sub_u32_e32 v17, 0, v14
	v_cmp_lt_u32_e32 vcc, v13, v14
	v_cndmask_b32_e32 v14, v17, v16, vcc
	v_add_u32_e32 v13, v14, v13
	v_mul_hi_u32 v16, v13, s29
	v_add_u32_e32 v14, -1, v13
	v_cvt_f32_u32_e32 v14, v14
	v_lshrrev_b32_e32 v16, 15, v16
	v_mul_u32_u24_e32 v17, 0xadc8, v16
	v_sub_u32_e32 v13, v13, v17
	v_mul_lo_u32 v13, v13, s30
	v_mul_u32_u24_e32 v16, 0xd47, v16
	v_xor_b32_e32 v17, 0x7fffffff, v16
	v_sub_u32_e32 v18, 0, v16
	v_cmp_lt_u32_e32 vcc, v13, v16
	v_cndmask_b32_e32 v16, v18, v17, vcc
	v_add_u32_e32 v13, v16, v13
	v_mul_hi_u32 v17, v13, s29
	v_add_u32_e32 v16, -1, v13
	v_cvt_f32_u32_e32 v16, v16
	v_fma_f32 v14, v14, s31, 0
	v_lshrrev_b32_e32 v17, 15, v17
	v_mul_u32_u24_e32 v18, 0xadc8, v17
	v_fma_f32 v16, v16, s31, 0
	v_sub_u32_e32 v13, v13, v18
	v_mul_f32_e32 v16, v16, v16
	v_mul_lo_u32 v13, v13, s30
	v_fmac_f32_e32 v16, v14, v14
	v_mul_f32_e32 v14, 0x4f800000, v16
	v_cmp_gt_f32_e32 vcc, s34, v16
	v_mul_u32_u24_e32 v17, 0xd47, v17
	v_cndmask_b32_e32 v14, v16, v14, vcc
	v_xor_b32_e32 v18, 0x7fffffff, v17
	v_sub_u32_e32 v19, 0, v17
	v_sqrt_f32_e32 v16, v14
	v_cmp_lt_u32_e64 s[24:25], v13, v17
	v_cndmask_b32_e64 v17, v19, v18, s[24:25]
	v_add_u32_e32 v13, v17, v13
	v_mul_hi_u32 v18, v13, s29
	v_add_u32_e32 v19, -1, v16
	v_add_u32_e32 v20, 1, v16
	v_fma_f32 v21, -v19, v16, v14
	v_fma_f32 v22, -v20, v16, v14
	v_cmp_ge_f32_e64 s[24:25], 0, v21
	v_cndmask_b32_e64 v16, v16, v19, s[24:25]
	v_cmp_lt_f32_e64 s[24:25], 0, v22
	v_lshrrev_b32_e32 v18, 15, v18
	v_cndmask_b32_e64 v16, v16, v20, s[24:25]
	v_mul_u32_u24_e32 v20, 0xadc8, v18
	v_add_u32_e32 v17, -1, v13
	v_sub_u32_e32 v13, v13, v20
	v_mul_f32_e32 v19, 0x37800000, v16
	v_mul_lo_u32 v13, v13, s30
	v_cndmask_b32_e32 v16, v16, v19, vcc
	v_cmp_class_f32_e32 vcc, v14, v11
	v_cndmask_b32_e32 v14, v16, v14, vcc
	v_mul_u32_u24_e32 v18, 0xd47, v18
	v_cmp_nge_f32_e32 vcc, 1.0, v14
	v_xor_b32_e32 v19, 0x7fffffff, v18
	v_sub_u32_e32 v20, 0, v18
	v_cndmask_b32_e32 v12, v15, v12, vcc
	v_cmp_lt_u32_e32 vcc, v13, v18
	v_cndmask_b32_e32 v15, v20, v19, vcc
	v_add_u32_e32 v13, v15, v13
	v_add_u32_e32 v15, -1, v13
	v_cvt_f32_u32_e32 v15, v15
	v_cvt_f32_u32_e32 v17, v17
	v_add_f32_e32 v14, 1.0, v12
	v_fma_f32 v15, v15, s31, 0
	v_fma_f32 v17, v17, s31, 0
	v_mul_f32_e32 v15, v15, v15
	v_fmac_f32_e32 v15, v17, v17
	v_mul_f32_e32 v16, 0x4f800000, v15
	v_cmp_gt_f32_e32 vcc, s34, v15
	v_cndmask_b32_e32 v15, v15, v16, vcc
	v_sqrt_f32_e32 v16, v15
	v_add_u32_e32 v17, -1, v16
	v_add_u32_e32 v18, 1, v16
	v_fma_f32 v19, -v17, v16, v15
	v_fma_f32 v20, -v18, v16, v15
	v_cmp_ge_f32_e64 s[24:25], 0, v19
	v_cndmask_b32_e64 v16, v16, v17, s[24:25]
	v_cmp_lt_f32_e64 s[24:25], 0, v20
	v_cndmask_b32_e64 v16, v16, v18, s[24:25]
	v_mul_f32_e32 v17, 0x37800000, v16
	v_cndmask_b32_e32 v16, v16, v17, vcc
	v_cmp_class_f32_e32 vcc, v15, v11
	v_cndmask_b32_e32 v15, v16, v15, vcc
	v_cmp_nge_f32_e32 vcc, 1.0, v15
	v_cndmask_b32_e32 v12, v14, v12, vcc
	s_cbranch_scc1 .LBB31_162
; %bb.163:
	v_mul_f32_e32 v11, 4.0, v12
	s_mov_b32 s28, 0x461c4000
	v_div_scale_f32 v12, s[24:25], s28, s28, v11
	v_div_scale_f32 v13, vcc, v11, s28, v11
	v_rcp_f32_e32 v14, v12
	v_fma_f32 v15, -v12, v14, 1.0
	v_fmac_f32_e32 v14, v15, v14
	v_mul_f32_e32 v15, v13, v14
	v_fma_f32 v16, -v12, v15, v13
	v_fmac_f32_e32 v15, v16, v14
	v_fma_f32 v12, -v12, v15, v13
	v_div_fmas_f32 v12, v12, v14, v15
	v_div_fixup_f32 v11, v12, s28, v11
.LBB31_164:
	s_or_b64 exec, exec, s[26:27]
	v_or_b32_e32 v13, 0xb00, v0
	v_cmp_gt_u32_e64 s[24:25], s80, v13
                                        ; implicit-def: $vgpr12
	s_and_saveexec_b64 s[28:29], s[24:25]
	s_cbranch_execz .LBB31_168
; %bb.165:
	v_add_u32_e32 v12, s33, v13
	v_lshlrev_b32_e32 v13, 12, v12
	s_mov_b32 s26, 0x7ed55d16
	v_add3_u32 v12, v12, v13, s26
	v_lshrrev_b32_e32 v13, 19, v12
	v_xor_b32_e32 v12, v12, v13
	v_xor_b32_e32 v12, 0xc761c23c, v12
	v_lshl_add_u32 v12, v12, 5, v12
	v_mov_b32_e32 v14, 0xaccf6200
	v_add_u32_e32 v13, 0xe9f8cc1d, v12
	v_lshl_add_u32 v12, v12, 9, v14
	v_xor_b32_e32 v12, v13, v12
	v_lshlrev_b32_e32 v13, 3, v12
	s_mov_b32 s26, 0xfd7046c5
	v_add3_u32 v12, v12, v13, s26
	v_xor_b32_sdwa v12, v12, v12 dst_sel:DWORD dst_unused:UNUSED_PAD src0_sel:DWORD src1_sel:WORD_1
	v_xor_b32_e32 v12, 0xb55a4f09, v12
	v_mul_hi_u32 v13, v12, 3
	s_brev_b32 s26, -2
	s_movk_i32 s30, 0x2710
	s_mov_b32 s31, 0xbc8f1391
	v_sub_u32_e32 v14, v12, v13
	v_lshrrev_b32_e32 v14, 1, v14
	v_add_u32_e32 v13, v14, v13
	v_lshrrev_b32_e32 v13, 30, v13
	v_mul_lo_u32 v14, v13, s26
	v_mov_b32_e32 v13, 0
	s_mov_b32 s34, 0xbc8f
	s_brev_b32 s35, 12
	v_sub_u32_e32 v12, v12, v14
	v_max_u32_e32 v14, 1, v12
	s_mov_b32 s36, 0xf800000
	v_mov_b32_e32 v12, 0x260
.LBB31_166:                             ; =>This Inner Loop Header: Depth=1
	v_mul_hi_u32 v15, v14, s31
	v_add_f32_e32 v16, 1.0, v13
	s_add_i32 s30, s30, -2
	s_cmp_lg_u32 s30, 0
	v_lshrrev_b32_e32 v15, 15, v15
	v_mul_u32_u24_e32 v17, 0xadc8, v15
	v_sub_u32_e32 v14, v14, v17
	v_mul_lo_u32 v14, v14, s34
	v_mul_u32_u24_e32 v15, 0xd47, v15
	v_xor_b32_e32 v17, 0x7fffffff, v15
	v_sub_u32_e32 v18, 0, v15
	v_cmp_lt_u32_e32 vcc, v14, v15
	v_cndmask_b32_e32 v15, v18, v17, vcc
	v_add_u32_e32 v14, v15, v14
	v_mul_hi_u32 v17, v14, s31
	v_add_u32_e32 v15, -1, v14
	v_cvt_f32_u32_e32 v15, v15
	v_lshrrev_b32_e32 v17, 15, v17
	v_mul_u32_u24_e32 v18, 0xadc8, v17
	v_sub_u32_e32 v14, v14, v18
	v_mul_lo_u32 v14, v14, s34
	v_mul_u32_u24_e32 v17, 0xd47, v17
	v_xor_b32_e32 v18, 0x7fffffff, v17
	v_sub_u32_e32 v19, 0, v17
	v_cmp_lt_u32_e32 vcc, v14, v17
	v_cndmask_b32_e32 v17, v19, v18, vcc
	v_add_u32_e32 v14, v17, v14
	v_mul_hi_u32 v18, v14, s31
	v_add_u32_e32 v17, -1, v14
	v_cvt_f32_u32_e32 v17, v17
	v_fma_f32 v15, v15, s35, 0
	v_lshrrev_b32_e32 v18, 15, v18
	v_mul_u32_u24_e32 v19, 0xadc8, v18
	v_fma_f32 v17, v17, s35, 0
	v_sub_u32_e32 v14, v14, v19
	v_mul_f32_e32 v17, v17, v17
	v_mul_lo_u32 v14, v14, s34
	v_fmac_f32_e32 v17, v15, v15
	v_mul_f32_e32 v15, 0x4f800000, v17
	v_cmp_gt_f32_e32 vcc, s36, v17
	v_mul_u32_u24_e32 v18, 0xd47, v18
	v_cndmask_b32_e32 v15, v17, v15, vcc
	v_xor_b32_e32 v19, 0x7fffffff, v18
	v_sub_u32_e32 v20, 0, v18
	v_sqrt_f32_e32 v17, v15
	v_cmp_lt_u32_e64 s[26:27], v14, v18
	v_cndmask_b32_e64 v18, v20, v19, s[26:27]
	v_add_u32_e32 v14, v18, v14
	v_mul_hi_u32 v19, v14, s31
	v_add_u32_e32 v20, -1, v17
	v_add_u32_e32 v21, 1, v17
	v_fma_f32 v22, -v20, v17, v15
	v_fma_f32 v23, -v21, v17, v15
	v_cmp_ge_f32_e64 s[26:27], 0, v22
	v_cndmask_b32_e64 v17, v17, v20, s[26:27]
	v_cmp_lt_f32_e64 s[26:27], 0, v23
	v_lshrrev_b32_e32 v19, 15, v19
	v_cndmask_b32_e64 v17, v17, v21, s[26:27]
	v_mul_u32_u24_e32 v21, 0xadc8, v19
	v_add_u32_e32 v18, -1, v14
	v_sub_u32_e32 v14, v14, v21
	v_mul_f32_e32 v20, 0x37800000, v17
	v_mul_lo_u32 v14, v14, s34
	v_cndmask_b32_e32 v17, v17, v20, vcc
	v_cmp_class_f32_e32 vcc, v15, v12
	v_cndmask_b32_e32 v15, v17, v15, vcc
	v_mul_u32_u24_e32 v19, 0xd47, v19
	v_cmp_nge_f32_e32 vcc, 1.0, v15
	v_xor_b32_e32 v20, 0x7fffffff, v19
	v_sub_u32_e32 v21, 0, v19
	v_cndmask_b32_e32 v13, v16, v13, vcc
	v_cmp_lt_u32_e32 vcc, v14, v19
	v_cndmask_b32_e32 v16, v21, v20, vcc
	v_add_u32_e32 v14, v16, v14
	v_add_u32_e32 v16, -1, v14
	v_cvt_f32_u32_e32 v16, v16
	v_cvt_f32_u32_e32 v18, v18
	v_add_f32_e32 v15, 1.0, v13
	v_fma_f32 v16, v16, s35, 0
	v_fma_f32 v18, v18, s35, 0
	v_mul_f32_e32 v16, v16, v16
	v_fmac_f32_e32 v16, v18, v18
	v_mul_f32_e32 v17, 0x4f800000, v16
	v_cmp_gt_f32_e32 vcc, s36, v16
	v_cndmask_b32_e32 v16, v16, v17, vcc
	v_sqrt_f32_e32 v17, v16
	v_add_u32_e32 v18, -1, v17
	v_add_u32_e32 v19, 1, v17
	v_fma_f32 v20, -v18, v17, v16
	v_fma_f32 v21, -v19, v17, v16
	v_cmp_ge_f32_e64 s[26:27], 0, v20
	v_cndmask_b32_e64 v17, v17, v18, s[26:27]
	v_cmp_lt_f32_e64 s[26:27], 0, v21
	v_cndmask_b32_e64 v17, v17, v19, s[26:27]
	v_mul_f32_e32 v18, 0x37800000, v17
	v_cndmask_b32_e32 v17, v17, v18, vcc
	v_cmp_class_f32_e32 vcc, v16, v12
	v_cndmask_b32_e32 v16, v17, v16, vcc
	v_cmp_nge_f32_e32 vcc, 1.0, v16
	v_cndmask_b32_e32 v13, v15, v13, vcc
	s_cbranch_scc1 .LBB31_166
; %bb.167:
	v_mul_f32_e32 v12, 4.0, v13
	s_mov_b32 s30, 0x461c4000
	v_div_scale_f32 v13, s[26:27], s30, s30, v12
	v_div_scale_f32 v14, vcc, v12, s30, v12
	v_rcp_f32_e32 v15, v13
	v_fma_f32 v16, -v13, v15, 1.0
	v_fmac_f32_e32 v15, v16, v15
	v_mul_f32_e32 v16, v14, v15
	v_fma_f32 v17, -v13, v16, v14
	v_fmac_f32_e32 v16, v17, v15
	v_fma_f32 v13, -v13, v16, v14
	v_div_fmas_f32 v13, v13, v15, v16
	v_div_fixup_f32 v12, v13, s30, v12
.LBB31_168:
	s_or_b64 exec, exec, s[28:29]
	v_or_b32_e32 v14, 0xc00, v0
	v_cmp_gt_u32_e64 s[26:27], s80, v14
                                        ; implicit-def: $vgpr13
	s_and_saveexec_b64 s[30:31], s[26:27]
	s_cbranch_execz .LBB31_172
; %bb.169:
	v_add_u32_e32 v13, s33, v14
	v_lshlrev_b32_e32 v14, 12, v13
	s_mov_b32 s28, 0x7ed55d16
	v_add3_u32 v13, v13, v14, s28
	v_lshrrev_b32_e32 v14, 19, v13
	v_xor_b32_e32 v13, v13, v14
	v_xor_b32_e32 v13, 0xc761c23c, v13
	v_lshl_add_u32 v13, v13, 5, v13
	v_mov_b32_e32 v15, 0xaccf6200
	v_add_u32_e32 v14, 0xe9f8cc1d, v13
	v_lshl_add_u32 v13, v13, 9, v15
	v_xor_b32_e32 v13, v14, v13
	v_lshlrev_b32_e32 v14, 3, v13
	s_mov_b32 s28, 0xfd7046c5
	v_add3_u32 v13, v13, v14, s28
	v_xor_b32_sdwa v13, v13, v13 dst_sel:DWORD dst_unused:UNUSED_PAD src0_sel:DWORD src1_sel:WORD_1
	v_xor_b32_e32 v13, 0xb55a4f09, v13
	v_mul_hi_u32 v14, v13, 3
	s_brev_b32 s28, -2
	s_movk_i32 s34, 0x2710
	s_mov_b32 s35, 0xbc8f1391
	v_sub_u32_e32 v15, v13, v14
	v_lshrrev_b32_e32 v15, 1, v15
	v_add_u32_e32 v14, v15, v14
	v_lshrrev_b32_e32 v14, 30, v14
	v_mul_lo_u32 v15, v14, s28
	v_mov_b32_e32 v14, 0
	s_mov_b32 s36, 0xbc8f
	s_brev_b32 s37, 12
	v_sub_u32_e32 v13, v13, v15
	v_max_u32_e32 v15, 1, v13
	s_mov_b32 s38, 0xf800000
	v_mov_b32_e32 v13, 0x260
.LBB31_170:                             ; =>This Inner Loop Header: Depth=1
	v_mul_hi_u32 v16, v15, s35
	s_add_i32 s34, s34, -2
	s_cmp_lg_u32 s34, 0
	v_lshrrev_b32_e32 v16, 15, v16
	v_mul_u32_u24_e32 v17, 0xadc8, v16
	v_sub_u32_e32 v15, v15, v17
	v_mul_lo_u32 v15, v15, s36
	v_mul_u32_u24_e32 v16, 0xd47, v16
	v_xor_b32_e32 v17, 0x7fffffff, v16
	v_cmp_lt_u32_e32 vcc, v15, v16
	v_sub_u32_e32 v16, 0, v16
	v_cndmask_b32_e32 v16, v16, v17, vcc
	v_add_u32_e32 v15, v16, v15
	v_mul_hi_u32 v17, v15, s35
	v_add_u32_e32 v16, -1, v15
	v_cvt_f32_u32_e32 v16, v16
	v_lshrrev_b32_e32 v17, 15, v17
	v_mul_u32_u24_e32 v18, 0xadc8, v17
	v_sub_u32_e32 v15, v15, v18
	v_mul_lo_u32 v15, v15, s36
	v_mul_u32_u24_e32 v17, 0xd47, v17
	v_xor_b32_e32 v18, 0x7fffffff, v17
	v_fma_f32 v16, v16, s37, 0
	v_cmp_lt_u32_e32 vcc, v15, v17
	v_sub_u32_e32 v17, 0, v17
	v_cndmask_b32_e32 v17, v17, v18, vcc
	v_add_u32_e32 v15, v17, v15
	v_add_u32_e32 v17, -1, v15
	v_cvt_f32_u32_e32 v17, v17
	v_fma_f32 v17, v17, s37, 0
	v_mul_f32_e32 v17, v17, v17
	v_fmac_f32_e32 v17, v16, v16
	v_cmp_gt_f32_e32 vcc, s38, v17
	v_mul_f32_e32 v16, 0x4f800000, v17
	v_cndmask_b32_e32 v16, v17, v16, vcc
	v_sqrt_f32_e32 v17, v16
	v_add_u32_e32 v18, -1, v17
	v_fma_f32 v19, -v18, v17, v16
	v_cmp_ge_f32_e64 s[28:29], 0, v19
	v_add_u32_e32 v19, 1, v17
	v_cndmask_b32_e64 v18, v17, v18, s[28:29]
	v_fma_f32 v17, -v19, v17, v16
	v_cmp_lt_f32_e64 s[28:29], 0, v17
	v_cndmask_b32_e64 v17, v18, v19, s[28:29]
	v_mul_f32_e32 v18, 0x37800000, v17
	v_cndmask_b32_e32 v17, v17, v18, vcc
	v_cmp_class_f32_e32 vcc, v16, v13
	v_cndmask_b32_e32 v16, v17, v16, vcc
	v_cmp_nge_f32_e32 vcc, 1.0, v16
	v_add_f32_e32 v16, 1.0, v14
	v_cndmask_b32_e32 v14, v16, v14, vcc
	v_mul_hi_u32 v16, v15, s35
	v_lshrrev_b32_e32 v16, 15, v16
	v_mul_u32_u24_e32 v17, 0xadc8, v16
	v_sub_u32_e32 v15, v15, v17
	v_mul_lo_u32 v15, v15, s36
	v_mul_u32_u24_e32 v16, 0xd47, v16
	v_xor_b32_e32 v17, 0x7fffffff, v16
	v_cmp_lt_u32_e32 vcc, v15, v16
	v_sub_u32_e32 v16, 0, v16
	v_cndmask_b32_e32 v16, v16, v17, vcc
	v_add_u32_e32 v15, v16, v15
	v_mul_hi_u32 v17, v15, s35
	v_add_u32_e32 v16, -1, v15
	v_cvt_f32_u32_e32 v16, v16
	v_lshrrev_b32_e32 v17, 15, v17
	v_mul_u32_u24_e32 v18, 0xadc8, v17
	v_sub_u32_e32 v15, v15, v18
	v_mul_lo_u32 v15, v15, s36
	v_mul_u32_u24_e32 v17, 0xd47, v17
	v_xor_b32_e32 v18, 0x7fffffff, v17
	v_fma_f32 v16, v16, s37, 0
	v_cmp_lt_u32_e32 vcc, v15, v17
	v_sub_u32_e32 v17, 0, v17
	v_cndmask_b32_e32 v17, v17, v18, vcc
	v_add_u32_e32 v15, v17, v15
	v_add_u32_e32 v17, -1, v15
	v_cvt_f32_u32_e32 v17, v17
	v_fma_f32 v17, v17, s37, 0
	v_mul_f32_e32 v17, v17, v17
	v_fmac_f32_e32 v17, v16, v16
	v_cmp_gt_f32_e32 vcc, s38, v17
	v_mul_f32_e32 v16, 0x4f800000, v17
	v_cndmask_b32_e32 v16, v17, v16, vcc
	v_sqrt_f32_e32 v17, v16
	v_add_u32_e32 v18, -1, v17
	v_fma_f32 v19, -v18, v17, v16
	v_cmp_ge_f32_e64 s[28:29], 0, v19
	v_add_u32_e32 v19, 1, v17
	v_cndmask_b32_e64 v18, v17, v18, s[28:29]
	v_fma_f32 v17, -v19, v17, v16
	v_cmp_lt_f32_e64 s[28:29], 0, v17
	v_cndmask_b32_e64 v17, v18, v19, s[28:29]
	v_mul_f32_e32 v18, 0x37800000, v17
	v_cndmask_b32_e32 v17, v17, v18, vcc
	v_cmp_class_f32_e32 vcc, v16, v13
	v_cndmask_b32_e32 v16, v17, v16, vcc
	v_cmp_nge_f32_e32 vcc, 1.0, v16
	v_add_f32_e32 v16, 1.0, v14
	v_cndmask_b32_e32 v14, v16, v14, vcc
	s_cbranch_scc1 .LBB31_170
; %bb.171:
	v_mul_f32_e32 v13, 4.0, v14
	s_mov_b32 s34, 0x461c4000
	v_div_scale_f32 v14, s[28:29], s34, s34, v13
	v_div_scale_f32 v15, vcc, v13, s34, v13
	v_rcp_f32_e32 v16, v14
	v_fma_f32 v17, -v14, v16, 1.0
	v_fmac_f32_e32 v16, v17, v16
	v_mul_f32_e32 v17, v15, v16
	v_fma_f32 v18, -v14, v17, v15
	v_fmac_f32_e32 v17, v18, v16
	v_fma_f32 v14, -v14, v17, v15
	v_div_fmas_f32 v14, v14, v16, v17
	v_div_fixup_f32 v13, v14, s34, v13
.LBB31_172:
	s_or_b64 exec, exec, s[30:31]
	v_or_b32_e32 v15, 0xd00, v0
	v_cmp_gt_u32_e64 s[28:29], s80, v15
                                        ; implicit-def: $vgpr14
	s_and_saveexec_b64 s[34:35], s[28:29]
	s_cbranch_execz .LBB31_176
; %bb.173:
	v_add_u32_e32 v14, s33, v15
	v_lshlrev_b32_e32 v15, 12, v14
	s_mov_b32 s30, 0x7ed55d16
	v_add3_u32 v14, v14, v15, s30
	v_lshrrev_b32_e32 v15, 19, v14
	v_xor_b32_e32 v14, v14, v15
	v_xor_b32_e32 v14, 0xc761c23c, v14
	v_lshl_add_u32 v14, v14, 5, v14
	v_mov_b32_e32 v16, 0xaccf6200
	v_add_u32_e32 v15, 0xe9f8cc1d, v14
	v_lshl_add_u32 v14, v14, 9, v16
	v_xor_b32_e32 v14, v15, v14
	v_lshlrev_b32_e32 v15, 3, v14
	s_mov_b32 s30, 0xfd7046c5
	v_add3_u32 v14, v14, v15, s30
	v_xor_b32_sdwa v14, v14, v14 dst_sel:DWORD dst_unused:UNUSED_PAD src0_sel:DWORD src1_sel:WORD_1
	v_xor_b32_e32 v14, 0xb55a4f09, v14
	v_mul_hi_u32 v15, v14, 3
	s_brev_b32 s30, -2
	s_movk_i32 s36, 0x2710
	s_mov_b32 s37, 0xbc8f1391
	v_sub_u32_e32 v16, v14, v15
	v_lshrrev_b32_e32 v16, 1, v16
	v_add_u32_e32 v15, v16, v15
	v_lshrrev_b32_e32 v15, 30, v15
	v_mul_lo_u32 v16, v15, s30
	v_mov_b32_e32 v15, 0
	s_mov_b32 s38, 0xbc8f
	s_brev_b32 s39, 12
	v_sub_u32_e32 v14, v14, v16
	v_max_u32_e32 v16, 1, v14
	s_mov_b32 s40, 0xf800000
	v_mov_b32_e32 v14, 0x260
.LBB31_174:                             ; =>This Inner Loop Header: Depth=1
	v_mul_hi_u32 v17, v16, s37
	s_add_i32 s36, s36, -2
	s_cmp_lg_u32 s36, 0
	v_lshrrev_b32_e32 v17, 15, v17
	v_mul_u32_u24_e32 v18, 0xadc8, v17
	v_sub_u32_e32 v16, v16, v18
	v_mul_lo_u32 v16, v16, s38
	v_mul_u32_u24_e32 v17, 0xd47, v17
	v_xor_b32_e32 v18, 0x7fffffff, v17
	v_cmp_lt_u32_e32 vcc, v16, v17
	v_sub_u32_e32 v17, 0, v17
	v_cndmask_b32_e32 v17, v17, v18, vcc
	v_add_u32_e32 v16, v17, v16
	v_mul_hi_u32 v18, v16, s37
	v_add_u32_e32 v17, -1, v16
	v_cvt_f32_u32_e32 v17, v17
	v_lshrrev_b32_e32 v18, 15, v18
	v_mul_u32_u24_e32 v19, 0xadc8, v18
	v_sub_u32_e32 v16, v16, v19
	v_mul_lo_u32 v16, v16, s38
	v_mul_u32_u24_e32 v18, 0xd47, v18
	v_xor_b32_e32 v19, 0x7fffffff, v18
	v_fma_f32 v17, v17, s39, 0
	v_cmp_lt_u32_e32 vcc, v16, v18
	v_sub_u32_e32 v18, 0, v18
	v_cndmask_b32_e32 v18, v18, v19, vcc
	v_add_u32_e32 v16, v18, v16
	v_add_u32_e32 v18, -1, v16
	v_cvt_f32_u32_e32 v18, v18
	v_fma_f32 v18, v18, s39, 0
	v_mul_f32_e32 v18, v18, v18
	v_fmac_f32_e32 v18, v17, v17
	v_cmp_gt_f32_e32 vcc, s40, v18
	v_mul_f32_e32 v17, 0x4f800000, v18
	v_cndmask_b32_e32 v17, v18, v17, vcc
	v_sqrt_f32_e32 v18, v17
	v_add_u32_e32 v19, -1, v18
	v_fma_f32 v20, -v19, v18, v17
	v_cmp_ge_f32_e64 s[30:31], 0, v20
	v_add_u32_e32 v20, 1, v18
	v_cndmask_b32_e64 v19, v18, v19, s[30:31]
	v_fma_f32 v18, -v20, v18, v17
	v_cmp_lt_f32_e64 s[30:31], 0, v18
	v_cndmask_b32_e64 v18, v19, v20, s[30:31]
	v_mul_f32_e32 v19, 0x37800000, v18
	v_cndmask_b32_e32 v18, v18, v19, vcc
	v_cmp_class_f32_e32 vcc, v17, v14
	v_cndmask_b32_e32 v17, v18, v17, vcc
	v_cmp_nge_f32_e32 vcc, 1.0, v17
	v_add_f32_e32 v17, 1.0, v15
	v_cndmask_b32_e32 v15, v17, v15, vcc
	v_mul_hi_u32 v17, v16, s37
	v_lshrrev_b32_e32 v17, 15, v17
	v_mul_u32_u24_e32 v18, 0xadc8, v17
	v_sub_u32_e32 v16, v16, v18
	v_mul_lo_u32 v16, v16, s38
	v_mul_u32_u24_e32 v17, 0xd47, v17
	v_xor_b32_e32 v18, 0x7fffffff, v17
	v_cmp_lt_u32_e32 vcc, v16, v17
	v_sub_u32_e32 v17, 0, v17
	v_cndmask_b32_e32 v17, v17, v18, vcc
	v_add_u32_e32 v16, v17, v16
	v_mul_hi_u32 v18, v16, s37
	v_add_u32_e32 v17, -1, v16
	v_cvt_f32_u32_e32 v17, v17
	v_lshrrev_b32_e32 v18, 15, v18
	v_mul_u32_u24_e32 v19, 0xadc8, v18
	v_sub_u32_e32 v16, v16, v19
	v_mul_lo_u32 v16, v16, s38
	v_mul_u32_u24_e32 v18, 0xd47, v18
	v_xor_b32_e32 v19, 0x7fffffff, v18
	v_fma_f32 v17, v17, s39, 0
	v_cmp_lt_u32_e32 vcc, v16, v18
	v_sub_u32_e32 v18, 0, v18
	v_cndmask_b32_e32 v18, v18, v19, vcc
	v_add_u32_e32 v16, v18, v16
	v_add_u32_e32 v18, -1, v16
	v_cvt_f32_u32_e32 v18, v18
	v_fma_f32 v18, v18, s39, 0
	v_mul_f32_e32 v18, v18, v18
	v_fmac_f32_e32 v18, v17, v17
	v_cmp_gt_f32_e32 vcc, s40, v18
	v_mul_f32_e32 v17, 0x4f800000, v18
	v_cndmask_b32_e32 v17, v18, v17, vcc
	v_sqrt_f32_e32 v18, v17
	v_add_u32_e32 v19, -1, v18
	v_fma_f32 v20, -v19, v18, v17
	v_cmp_ge_f32_e64 s[30:31], 0, v20
	v_add_u32_e32 v20, 1, v18
	v_cndmask_b32_e64 v19, v18, v19, s[30:31]
	v_fma_f32 v18, -v20, v18, v17
	v_cmp_lt_f32_e64 s[30:31], 0, v18
	v_cndmask_b32_e64 v18, v19, v20, s[30:31]
	v_mul_f32_e32 v19, 0x37800000, v18
	v_cndmask_b32_e32 v18, v18, v19, vcc
	v_cmp_class_f32_e32 vcc, v17, v14
	v_cndmask_b32_e32 v17, v18, v17, vcc
	v_cmp_nge_f32_e32 vcc, 1.0, v17
	v_add_f32_e32 v17, 1.0, v15
	v_cndmask_b32_e32 v15, v17, v15, vcc
	s_cbranch_scc1 .LBB31_174
; %bb.175:
	v_mul_f32_e32 v14, 4.0, v15
	s_mov_b32 s36, 0x461c4000
	v_div_scale_f32 v15, s[30:31], s36, s36, v14
	v_div_scale_f32 v16, vcc, v14, s36, v14
	v_rcp_f32_e32 v17, v15
	v_fma_f32 v18, -v15, v17, 1.0
	v_fmac_f32_e32 v17, v18, v17
	v_mul_f32_e32 v18, v16, v17
	v_fma_f32 v19, -v15, v18, v16
	v_fmac_f32_e32 v18, v19, v17
	v_fma_f32 v15, -v15, v18, v16
	v_div_fmas_f32 v15, v15, v17, v18
	v_div_fixup_f32 v14, v15, s36, v14
.LBB31_176:
	s_or_b64 exec, exec, s[34:35]
	v_or_b32_e32 v16, 0xe00, v0
	v_cmp_gt_u32_e64 s[30:31], s80, v16
                                        ; implicit-def: $vgpr15
	s_and_saveexec_b64 s[36:37], s[30:31]
	s_cbranch_execz .LBB31_180
; %bb.177:
	v_add_u32_e32 v15, s33, v16
	v_lshlrev_b32_e32 v16, 12, v15
	s_mov_b32 s34, 0x7ed55d16
	v_add3_u32 v15, v15, v16, s34
	v_lshrrev_b32_e32 v16, 19, v15
	v_xor_b32_e32 v15, v15, v16
	v_xor_b32_e32 v15, 0xc761c23c, v15
	v_lshl_add_u32 v15, v15, 5, v15
	v_mov_b32_e32 v17, 0xaccf6200
	v_add_u32_e32 v16, 0xe9f8cc1d, v15
	v_lshl_add_u32 v15, v15, 9, v17
	v_xor_b32_e32 v15, v16, v15
	v_lshlrev_b32_e32 v16, 3, v15
	s_mov_b32 s34, 0xfd7046c5
	v_add3_u32 v15, v15, v16, s34
	v_xor_b32_sdwa v15, v15, v15 dst_sel:DWORD dst_unused:UNUSED_PAD src0_sel:DWORD src1_sel:WORD_1
	v_xor_b32_e32 v15, 0xb55a4f09, v15
	v_mul_hi_u32 v16, v15, 3
	s_brev_b32 s34, -2
	s_movk_i32 s38, 0x2710
	s_mov_b32 s39, 0xbc8f1391
	v_sub_u32_e32 v17, v15, v16
	v_lshrrev_b32_e32 v17, 1, v17
	v_add_u32_e32 v16, v17, v16
	v_lshrrev_b32_e32 v16, 30, v16
	v_mul_lo_u32 v17, v16, s34
	v_mov_b32_e32 v16, 0
	s_mov_b32 s40, 0xbc8f
	s_brev_b32 s41, 12
	v_sub_u32_e32 v15, v15, v17
	v_max_u32_e32 v17, 1, v15
	s_mov_b32 s42, 0xf800000
	v_mov_b32_e32 v15, 0x260
.LBB31_178:                             ; =>This Inner Loop Header: Depth=1
	v_mul_hi_u32 v18, v17, s39
	s_add_i32 s38, s38, -2
	s_cmp_lg_u32 s38, 0
	v_lshrrev_b32_e32 v18, 15, v18
	v_mul_u32_u24_e32 v19, 0xadc8, v18
	v_sub_u32_e32 v17, v17, v19
	v_mul_lo_u32 v17, v17, s40
	v_mul_u32_u24_e32 v18, 0xd47, v18
	v_xor_b32_e32 v19, 0x7fffffff, v18
	v_cmp_lt_u32_e32 vcc, v17, v18
	v_sub_u32_e32 v18, 0, v18
	v_cndmask_b32_e32 v18, v18, v19, vcc
	v_add_u32_e32 v17, v18, v17
	v_mul_hi_u32 v19, v17, s39
	v_add_u32_e32 v18, -1, v17
	v_cvt_f32_u32_e32 v18, v18
	v_lshrrev_b32_e32 v19, 15, v19
	v_mul_u32_u24_e32 v20, 0xadc8, v19
	v_sub_u32_e32 v17, v17, v20
	v_mul_lo_u32 v17, v17, s40
	v_mul_u32_u24_e32 v19, 0xd47, v19
	v_xor_b32_e32 v20, 0x7fffffff, v19
	v_fma_f32 v18, v18, s41, 0
	v_cmp_lt_u32_e32 vcc, v17, v19
	v_sub_u32_e32 v19, 0, v19
	v_cndmask_b32_e32 v19, v19, v20, vcc
	v_add_u32_e32 v17, v19, v17
	v_add_u32_e32 v19, -1, v17
	v_cvt_f32_u32_e32 v19, v19
	v_fma_f32 v19, v19, s41, 0
	v_mul_f32_e32 v19, v19, v19
	v_fmac_f32_e32 v19, v18, v18
	v_cmp_gt_f32_e32 vcc, s42, v19
	v_mul_f32_e32 v18, 0x4f800000, v19
	v_cndmask_b32_e32 v18, v19, v18, vcc
	v_sqrt_f32_e32 v19, v18
	v_add_u32_e32 v20, -1, v19
	v_fma_f32 v21, -v20, v19, v18
	v_cmp_ge_f32_e64 s[34:35], 0, v21
	v_add_u32_e32 v21, 1, v19
	v_cndmask_b32_e64 v20, v19, v20, s[34:35]
	v_fma_f32 v19, -v21, v19, v18
	v_cmp_lt_f32_e64 s[34:35], 0, v19
	v_cndmask_b32_e64 v19, v20, v21, s[34:35]
	v_mul_f32_e32 v20, 0x37800000, v19
	v_cndmask_b32_e32 v19, v19, v20, vcc
	v_cmp_class_f32_e32 vcc, v18, v15
	v_cndmask_b32_e32 v18, v19, v18, vcc
	v_cmp_nge_f32_e32 vcc, 1.0, v18
	v_add_f32_e32 v18, 1.0, v16
	v_cndmask_b32_e32 v16, v18, v16, vcc
	v_mul_hi_u32 v18, v17, s39
	v_lshrrev_b32_e32 v18, 15, v18
	v_mul_u32_u24_e32 v19, 0xadc8, v18
	v_sub_u32_e32 v17, v17, v19
	v_mul_lo_u32 v17, v17, s40
	v_mul_u32_u24_e32 v18, 0xd47, v18
	v_xor_b32_e32 v19, 0x7fffffff, v18
	v_cmp_lt_u32_e32 vcc, v17, v18
	v_sub_u32_e32 v18, 0, v18
	v_cndmask_b32_e32 v18, v18, v19, vcc
	v_add_u32_e32 v17, v18, v17
	v_mul_hi_u32 v19, v17, s39
	v_add_u32_e32 v18, -1, v17
	v_cvt_f32_u32_e32 v18, v18
	v_lshrrev_b32_e32 v19, 15, v19
	v_mul_u32_u24_e32 v20, 0xadc8, v19
	v_sub_u32_e32 v17, v17, v20
	v_mul_lo_u32 v17, v17, s40
	v_mul_u32_u24_e32 v19, 0xd47, v19
	v_xor_b32_e32 v20, 0x7fffffff, v19
	v_fma_f32 v18, v18, s41, 0
	v_cmp_lt_u32_e32 vcc, v17, v19
	v_sub_u32_e32 v19, 0, v19
	v_cndmask_b32_e32 v19, v19, v20, vcc
	v_add_u32_e32 v17, v19, v17
	v_add_u32_e32 v19, -1, v17
	v_cvt_f32_u32_e32 v19, v19
	v_fma_f32 v19, v19, s41, 0
	v_mul_f32_e32 v19, v19, v19
	v_fmac_f32_e32 v19, v18, v18
	v_cmp_gt_f32_e32 vcc, s42, v19
	v_mul_f32_e32 v18, 0x4f800000, v19
	v_cndmask_b32_e32 v18, v19, v18, vcc
	v_sqrt_f32_e32 v19, v18
	v_add_u32_e32 v20, -1, v19
	v_fma_f32 v21, -v20, v19, v18
	v_cmp_ge_f32_e64 s[34:35], 0, v21
	v_add_u32_e32 v21, 1, v19
	v_cndmask_b32_e64 v20, v19, v20, s[34:35]
	v_fma_f32 v19, -v21, v19, v18
	v_cmp_lt_f32_e64 s[34:35], 0, v19
	v_cndmask_b32_e64 v19, v20, v21, s[34:35]
	v_mul_f32_e32 v20, 0x37800000, v19
	v_cndmask_b32_e32 v19, v19, v20, vcc
	v_cmp_class_f32_e32 vcc, v18, v15
	v_cndmask_b32_e32 v18, v19, v18, vcc
	v_cmp_nge_f32_e32 vcc, 1.0, v18
	v_add_f32_e32 v18, 1.0, v16
	v_cndmask_b32_e32 v16, v18, v16, vcc
	s_cbranch_scc1 .LBB31_178
; %bb.179:
	v_mul_f32_e32 v15, 4.0, v16
	s_mov_b32 s38, 0x461c4000
	v_div_scale_f32 v16, s[34:35], s38, s38, v15
	v_div_scale_f32 v17, vcc, v15, s38, v15
	v_rcp_f32_e32 v18, v16
	v_fma_f32 v19, -v16, v18, 1.0
	v_fmac_f32_e32 v18, v19, v18
	v_mul_f32_e32 v19, v17, v18
	v_fma_f32 v20, -v16, v19, v17
	v_fmac_f32_e32 v19, v20, v18
	v_fma_f32 v16, -v16, v19, v17
	v_div_fmas_f32 v16, v16, v18, v19
	v_div_fixup_f32 v15, v16, s38, v15
.LBB31_180:
	s_or_b64 exec, exec, s[36:37]
	v_or_b32_e32 v17, 0xf00, v0
	v_cmp_gt_u32_e64 s[34:35], s80, v17
                                        ; implicit-def: $vgpr16
	s_and_saveexec_b64 s[38:39], s[34:35]
	s_cbranch_execz .LBB31_184
; %bb.181:
	v_add_u32_e32 v16, s33, v17
	v_lshlrev_b32_e32 v17, 12, v16
	s_mov_b32 s36, 0x7ed55d16
	v_add3_u32 v16, v16, v17, s36
	v_lshrrev_b32_e32 v17, 19, v16
	v_xor_b32_e32 v16, v16, v17
	v_xor_b32_e32 v16, 0xc761c23c, v16
	v_lshl_add_u32 v16, v16, 5, v16
	v_mov_b32_e32 v18, 0xaccf6200
	v_add_u32_e32 v17, 0xe9f8cc1d, v16
	v_lshl_add_u32 v16, v16, 9, v18
	v_xor_b32_e32 v16, v17, v16
	v_lshlrev_b32_e32 v17, 3, v16
	s_mov_b32 s36, 0xfd7046c5
	v_add3_u32 v16, v16, v17, s36
	v_xor_b32_sdwa v16, v16, v16 dst_sel:DWORD dst_unused:UNUSED_PAD src0_sel:DWORD src1_sel:WORD_1
	v_xor_b32_e32 v16, 0xb55a4f09, v16
	v_mul_hi_u32 v17, v16, 3
	s_brev_b32 s36, -2
	s_movk_i32 s40, 0x2710
	s_mov_b32 s41, 0xbc8f1391
	v_sub_u32_e32 v18, v16, v17
	v_lshrrev_b32_e32 v18, 1, v18
	v_add_u32_e32 v17, v18, v17
	v_lshrrev_b32_e32 v17, 30, v17
	v_mul_lo_u32 v18, v17, s36
	v_mov_b32_e32 v17, 0
	s_mov_b32 s42, 0xbc8f
	s_brev_b32 s43, 12
	v_sub_u32_e32 v16, v16, v18
	v_max_u32_e32 v18, 1, v16
	s_mov_b32 s44, 0xf800000
	v_mov_b32_e32 v16, 0x260
.LBB31_182:                             ; =>This Inner Loop Header: Depth=1
	v_mul_hi_u32 v19, v18, s41
	s_add_i32 s40, s40, -2
	s_cmp_lg_u32 s40, 0
	v_lshrrev_b32_e32 v19, 15, v19
	v_mul_u32_u24_e32 v20, 0xadc8, v19
	v_sub_u32_e32 v18, v18, v20
	v_mul_lo_u32 v18, v18, s42
	v_mul_u32_u24_e32 v19, 0xd47, v19
	v_xor_b32_e32 v20, 0x7fffffff, v19
	v_cmp_lt_u32_e32 vcc, v18, v19
	v_sub_u32_e32 v19, 0, v19
	v_cndmask_b32_e32 v19, v19, v20, vcc
	v_add_u32_e32 v18, v19, v18
	v_mul_hi_u32 v20, v18, s41
	v_add_u32_e32 v19, -1, v18
	v_cvt_f32_u32_e32 v19, v19
	v_lshrrev_b32_e32 v20, 15, v20
	v_mul_u32_u24_e32 v21, 0xadc8, v20
	v_sub_u32_e32 v18, v18, v21
	v_mul_lo_u32 v18, v18, s42
	v_mul_u32_u24_e32 v20, 0xd47, v20
	v_xor_b32_e32 v21, 0x7fffffff, v20
	v_fma_f32 v19, v19, s43, 0
	v_cmp_lt_u32_e32 vcc, v18, v20
	v_sub_u32_e32 v20, 0, v20
	v_cndmask_b32_e32 v20, v20, v21, vcc
	v_add_u32_e32 v18, v20, v18
	v_add_u32_e32 v20, -1, v18
	v_cvt_f32_u32_e32 v20, v20
	v_fma_f32 v20, v20, s43, 0
	v_mul_f32_e32 v20, v20, v20
	v_fmac_f32_e32 v20, v19, v19
	v_cmp_gt_f32_e32 vcc, s44, v20
	v_mul_f32_e32 v19, 0x4f800000, v20
	v_cndmask_b32_e32 v19, v20, v19, vcc
	v_sqrt_f32_e32 v20, v19
	v_add_u32_e32 v21, -1, v20
	v_fma_f32 v22, -v21, v20, v19
	v_cmp_ge_f32_e64 s[36:37], 0, v22
	v_add_u32_e32 v22, 1, v20
	v_cndmask_b32_e64 v21, v20, v21, s[36:37]
	v_fma_f32 v20, -v22, v20, v19
	v_cmp_lt_f32_e64 s[36:37], 0, v20
	v_cndmask_b32_e64 v20, v21, v22, s[36:37]
	v_mul_f32_e32 v21, 0x37800000, v20
	v_cndmask_b32_e32 v20, v20, v21, vcc
	v_cmp_class_f32_e32 vcc, v19, v16
	v_cndmask_b32_e32 v19, v20, v19, vcc
	v_cmp_nge_f32_e32 vcc, 1.0, v19
	v_add_f32_e32 v19, 1.0, v17
	v_cndmask_b32_e32 v17, v19, v17, vcc
	v_mul_hi_u32 v19, v18, s41
	v_lshrrev_b32_e32 v19, 15, v19
	v_mul_u32_u24_e32 v20, 0xadc8, v19
	v_sub_u32_e32 v18, v18, v20
	v_mul_lo_u32 v18, v18, s42
	v_mul_u32_u24_e32 v19, 0xd47, v19
	v_xor_b32_e32 v20, 0x7fffffff, v19
	v_cmp_lt_u32_e32 vcc, v18, v19
	v_sub_u32_e32 v19, 0, v19
	v_cndmask_b32_e32 v19, v19, v20, vcc
	v_add_u32_e32 v18, v19, v18
	v_mul_hi_u32 v20, v18, s41
	v_add_u32_e32 v19, -1, v18
	v_cvt_f32_u32_e32 v19, v19
	v_lshrrev_b32_e32 v20, 15, v20
	v_mul_u32_u24_e32 v21, 0xadc8, v20
	v_sub_u32_e32 v18, v18, v21
	v_mul_lo_u32 v18, v18, s42
	v_mul_u32_u24_e32 v20, 0xd47, v20
	v_xor_b32_e32 v21, 0x7fffffff, v20
	v_fma_f32 v19, v19, s43, 0
	v_cmp_lt_u32_e32 vcc, v18, v20
	v_sub_u32_e32 v20, 0, v20
	v_cndmask_b32_e32 v20, v20, v21, vcc
	v_add_u32_e32 v18, v20, v18
	v_add_u32_e32 v20, -1, v18
	v_cvt_f32_u32_e32 v20, v20
	v_fma_f32 v20, v20, s43, 0
	v_mul_f32_e32 v20, v20, v20
	v_fmac_f32_e32 v20, v19, v19
	v_cmp_gt_f32_e32 vcc, s44, v20
	v_mul_f32_e32 v19, 0x4f800000, v20
	v_cndmask_b32_e32 v19, v20, v19, vcc
	v_sqrt_f32_e32 v20, v19
	v_add_u32_e32 v21, -1, v20
	v_fma_f32 v22, -v21, v20, v19
	v_cmp_ge_f32_e64 s[36:37], 0, v22
	v_add_u32_e32 v22, 1, v20
	v_cndmask_b32_e64 v21, v20, v21, s[36:37]
	v_fma_f32 v20, -v22, v20, v19
	v_cmp_lt_f32_e64 s[36:37], 0, v20
	v_cndmask_b32_e64 v20, v21, v22, s[36:37]
	v_mul_f32_e32 v21, 0x37800000, v20
	v_cndmask_b32_e32 v20, v20, v21, vcc
	v_cmp_class_f32_e32 vcc, v19, v16
	v_cndmask_b32_e32 v19, v20, v19, vcc
	v_cmp_nge_f32_e32 vcc, 1.0, v19
	v_add_f32_e32 v19, 1.0, v17
	v_cndmask_b32_e32 v17, v19, v17, vcc
	s_cbranch_scc1 .LBB31_182
; %bb.183:
	v_mul_f32_e32 v16, 4.0, v17
	s_mov_b32 s40, 0x461c4000
	v_div_scale_f32 v17, s[36:37], s40, s40, v16
	v_div_scale_f32 v18, vcc, v16, s40, v16
	v_rcp_f32_e32 v19, v17
	v_fma_f32 v20, -v17, v19, 1.0
	v_fmac_f32_e32 v19, v20, v19
	v_mul_f32_e32 v20, v18, v19
	v_fma_f32 v21, -v17, v20, v18
	v_fmac_f32_e32 v20, v21, v19
	v_fma_f32 v17, -v17, v20, v18
	v_div_fmas_f32 v17, v17, v19, v20
	v_div_fixup_f32 v16, v17, s40, v16
.LBB31_184:
	s_or_b64 exec, exec, s[38:39]
	v_or_b32_e32 v18, 0x1000, v0
	v_cmp_gt_u32_e64 s[36:37], s80, v18
                                        ; implicit-def: $vgpr17
	s_and_saveexec_b64 s[40:41], s[36:37]
	s_cbranch_execz .LBB31_188
; %bb.185:
	v_add_u32_e32 v17, s33, v18
	v_lshlrev_b32_e32 v18, 12, v17
	s_mov_b32 s38, 0x7ed55d16
	v_add3_u32 v17, v17, v18, s38
	v_lshrrev_b32_e32 v18, 19, v17
	v_xor_b32_e32 v17, v17, v18
	v_xor_b32_e32 v17, 0xc761c23c, v17
	v_lshl_add_u32 v17, v17, 5, v17
	v_mov_b32_e32 v19, 0xaccf6200
	v_add_u32_e32 v18, 0xe9f8cc1d, v17
	v_lshl_add_u32 v17, v17, 9, v19
	v_xor_b32_e32 v17, v18, v17
	v_lshlrev_b32_e32 v18, 3, v17
	s_mov_b32 s38, 0xfd7046c5
	v_add3_u32 v17, v17, v18, s38
	v_xor_b32_sdwa v17, v17, v17 dst_sel:DWORD dst_unused:UNUSED_PAD src0_sel:DWORD src1_sel:WORD_1
	v_xor_b32_e32 v17, 0xb55a4f09, v17
	v_mul_hi_u32 v18, v17, 3
	s_brev_b32 s38, -2
	s_movk_i32 s42, 0x2710
	s_mov_b32 s43, 0xbc8f1391
	v_sub_u32_e32 v19, v17, v18
	v_lshrrev_b32_e32 v19, 1, v19
	v_add_u32_e32 v18, v19, v18
	v_lshrrev_b32_e32 v18, 30, v18
	v_mul_lo_u32 v19, v18, s38
	v_mov_b32_e32 v18, 0
	s_mov_b32 s44, 0xbc8f
	s_brev_b32 s45, 12
	v_sub_u32_e32 v17, v17, v19
	v_max_u32_e32 v19, 1, v17
	s_mov_b32 s46, 0xf800000
	v_mov_b32_e32 v17, 0x260
.LBB31_186:                             ; =>This Inner Loop Header: Depth=1
	v_mul_hi_u32 v20, v19, s43
	s_add_i32 s42, s42, -2
	s_cmp_lg_u32 s42, 0
	v_lshrrev_b32_e32 v20, 15, v20
	v_mul_u32_u24_e32 v21, 0xadc8, v20
	v_sub_u32_e32 v19, v19, v21
	v_mul_lo_u32 v19, v19, s44
	v_mul_u32_u24_e32 v20, 0xd47, v20
	v_xor_b32_e32 v21, 0x7fffffff, v20
	v_cmp_lt_u32_e32 vcc, v19, v20
	v_sub_u32_e32 v20, 0, v20
	v_cndmask_b32_e32 v20, v20, v21, vcc
	v_add_u32_e32 v19, v20, v19
	v_mul_hi_u32 v21, v19, s43
	v_add_u32_e32 v20, -1, v19
	v_cvt_f32_u32_e32 v20, v20
	v_lshrrev_b32_e32 v21, 15, v21
	v_mul_u32_u24_e32 v22, 0xadc8, v21
	v_sub_u32_e32 v19, v19, v22
	v_mul_lo_u32 v19, v19, s44
	v_mul_u32_u24_e32 v21, 0xd47, v21
	v_xor_b32_e32 v22, 0x7fffffff, v21
	v_fma_f32 v20, v20, s45, 0
	v_cmp_lt_u32_e32 vcc, v19, v21
	v_sub_u32_e32 v21, 0, v21
	v_cndmask_b32_e32 v21, v21, v22, vcc
	v_add_u32_e32 v19, v21, v19
	v_add_u32_e32 v21, -1, v19
	v_cvt_f32_u32_e32 v21, v21
	v_fma_f32 v21, v21, s45, 0
	v_mul_f32_e32 v21, v21, v21
	v_fmac_f32_e32 v21, v20, v20
	v_cmp_gt_f32_e32 vcc, s46, v21
	v_mul_f32_e32 v20, 0x4f800000, v21
	v_cndmask_b32_e32 v20, v21, v20, vcc
	v_sqrt_f32_e32 v21, v20
	v_add_u32_e32 v22, -1, v21
	v_fma_f32 v23, -v22, v21, v20
	v_cmp_ge_f32_e64 s[38:39], 0, v23
	v_add_u32_e32 v23, 1, v21
	v_cndmask_b32_e64 v22, v21, v22, s[38:39]
	v_fma_f32 v21, -v23, v21, v20
	v_cmp_lt_f32_e64 s[38:39], 0, v21
	v_cndmask_b32_e64 v21, v22, v23, s[38:39]
	v_mul_f32_e32 v22, 0x37800000, v21
	v_cndmask_b32_e32 v21, v21, v22, vcc
	v_cmp_class_f32_e32 vcc, v20, v17
	v_cndmask_b32_e32 v20, v21, v20, vcc
	v_cmp_nge_f32_e32 vcc, 1.0, v20
	v_add_f32_e32 v20, 1.0, v18
	v_cndmask_b32_e32 v18, v20, v18, vcc
	v_mul_hi_u32 v20, v19, s43
	v_lshrrev_b32_e32 v20, 15, v20
	v_mul_u32_u24_e32 v21, 0xadc8, v20
	v_sub_u32_e32 v19, v19, v21
	v_mul_lo_u32 v19, v19, s44
	v_mul_u32_u24_e32 v20, 0xd47, v20
	v_xor_b32_e32 v21, 0x7fffffff, v20
	v_cmp_lt_u32_e32 vcc, v19, v20
	v_sub_u32_e32 v20, 0, v20
	v_cndmask_b32_e32 v20, v20, v21, vcc
	v_add_u32_e32 v19, v20, v19
	v_mul_hi_u32 v21, v19, s43
	v_add_u32_e32 v20, -1, v19
	v_cvt_f32_u32_e32 v20, v20
	v_lshrrev_b32_e32 v21, 15, v21
	v_mul_u32_u24_e32 v22, 0xadc8, v21
	v_sub_u32_e32 v19, v19, v22
	v_mul_lo_u32 v19, v19, s44
	v_mul_u32_u24_e32 v21, 0xd47, v21
	v_xor_b32_e32 v22, 0x7fffffff, v21
	v_fma_f32 v20, v20, s45, 0
	v_cmp_lt_u32_e32 vcc, v19, v21
	v_sub_u32_e32 v21, 0, v21
	v_cndmask_b32_e32 v21, v21, v22, vcc
	v_add_u32_e32 v19, v21, v19
	v_add_u32_e32 v21, -1, v19
	v_cvt_f32_u32_e32 v21, v21
	v_fma_f32 v21, v21, s45, 0
	v_mul_f32_e32 v21, v21, v21
	v_fmac_f32_e32 v21, v20, v20
	v_cmp_gt_f32_e32 vcc, s46, v21
	v_mul_f32_e32 v20, 0x4f800000, v21
	v_cndmask_b32_e32 v20, v21, v20, vcc
	v_sqrt_f32_e32 v21, v20
	v_add_u32_e32 v22, -1, v21
	v_fma_f32 v23, -v22, v21, v20
	v_cmp_ge_f32_e64 s[38:39], 0, v23
	v_add_u32_e32 v23, 1, v21
	v_cndmask_b32_e64 v22, v21, v22, s[38:39]
	v_fma_f32 v21, -v23, v21, v20
	v_cmp_lt_f32_e64 s[38:39], 0, v21
	v_cndmask_b32_e64 v21, v22, v23, s[38:39]
	v_mul_f32_e32 v22, 0x37800000, v21
	v_cndmask_b32_e32 v21, v21, v22, vcc
	v_cmp_class_f32_e32 vcc, v20, v17
	v_cndmask_b32_e32 v20, v21, v20, vcc
	v_cmp_nge_f32_e32 vcc, 1.0, v20
	v_add_f32_e32 v20, 1.0, v18
	v_cndmask_b32_e32 v18, v20, v18, vcc
	s_cbranch_scc1 .LBB31_186
; %bb.187:
	v_mul_f32_e32 v17, 4.0, v18
	s_mov_b32 s42, 0x461c4000
	v_div_scale_f32 v18, s[38:39], s42, s42, v17
	v_div_scale_f32 v19, vcc, v17, s42, v17
	v_rcp_f32_e32 v20, v18
	v_fma_f32 v21, -v18, v20, 1.0
	v_fmac_f32_e32 v20, v21, v20
	v_mul_f32_e32 v21, v19, v20
	v_fma_f32 v22, -v18, v21, v19
	v_fmac_f32_e32 v21, v22, v20
	v_fma_f32 v18, -v18, v21, v19
	v_div_fmas_f32 v18, v18, v20, v21
	v_div_fixup_f32 v17, v18, s42, v17
.LBB31_188:
	s_or_b64 exec, exec, s[40:41]
	v_or_b32_e32 v19, 0x1100, v0
	v_cmp_gt_u32_e64 s[38:39], s80, v19
                                        ; implicit-def: $vgpr18
	s_and_saveexec_b64 s[42:43], s[38:39]
	s_cbranch_execz .LBB31_192
; %bb.189:
	v_add_u32_e32 v18, s33, v19
	v_lshlrev_b32_e32 v19, 12, v18
	s_mov_b32 s40, 0x7ed55d16
	v_add3_u32 v18, v18, v19, s40
	v_lshrrev_b32_e32 v19, 19, v18
	v_xor_b32_e32 v18, v18, v19
	v_xor_b32_e32 v18, 0xc761c23c, v18
	v_lshl_add_u32 v18, v18, 5, v18
	v_mov_b32_e32 v20, 0xaccf6200
	v_add_u32_e32 v19, 0xe9f8cc1d, v18
	v_lshl_add_u32 v18, v18, 9, v20
	v_xor_b32_e32 v18, v19, v18
	v_lshlrev_b32_e32 v19, 3, v18
	s_mov_b32 s40, 0xfd7046c5
	v_add3_u32 v18, v18, v19, s40
	v_xor_b32_sdwa v18, v18, v18 dst_sel:DWORD dst_unused:UNUSED_PAD src0_sel:DWORD src1_sel:WORD_1
	v_xor_b32_e32 v18, 0xb55a4f09, v18
	v_mul_hi_u32 v19, v18, 3
	s_brev_b32 s40, -2
	s_movk_i32 s44, 0x2710
	s_mov_b32 s45, 0xbc8f1391
	v_sub_u32_e32 v20, v18, v19
	v_lshrrev_b32_e32 v20, 1, v20
	v_add_u32_e32 v19, v20, v19
	v_lshrrev_b32_e32 v19, 30, v19
	v_mul_lo_u32 v20, v19, s40
	v_mov_b32_e32 v19, 0
	s_mov_b32 s46, 0xbc8f
	s_brev_b32 s47, 12
	v_sub_u32_e32 v18, v18, v20
	v_max_u32_e32 v20, 1, v18
	s_mov_b32 s48, 0xf800000
	v_mov_b32_e32 v18, 0x260
.LBB31_190:                             ; =>This Inner Loop Header: Depth=1
	v_mul_hi_u32 v21, v20, s45
	s_add_i32 s44, s44, -2
	s_cmp_lg_u32 s44, 0
	v_lshrrev_b32_e32 v21, 15, v21
	v_mul_u32_u24_e32 v22, 0xadc8, v21
	v_sub_u32_e32 v20, v20, v22
	v_mul_lo_u32 v20, v20, s46
	v_mul_u32_u24_e32 v21, 0xd47, v21
	v_xor_b32_e32 v22, 0x7fffffff, v21
	v_cmp_lt_u32_e32 vcc, v20, v21
	v_sub_u32_e32 v21, 0, v21
	v_cndmask_b32_e32 v21, v21, v22, vcc
	v_add_u32_e32 v20, v21, v20
	v_mul_hi_u32 v22, v20, s45
	v_add_u32_e32 v21, -1, v20
	v_cvt_f32_u32_e32 v21, v21
	v_lshrrev_b32_e32 v22, 15, v22
	v_mul_u32_u24_e32 v23, 0xadc8, v22
	v_sub_u32_e32 v20, v20, v23
	v_mul_lo_u32 v20, v20, s46
	v_mul_u32_u24_e32 v22, 0xd47, v22
	v_xor_b32_e32 v23, 0x7fffffff, v22
	v_fma_f32 v21, v21, s47, 0
	v_cmp_lt_u32_e32 vcc, v20, v22
	v_sub_u32_e32 v22, 0, v22
	v_cndmask_b32_e32 v22, v22, v23, vcc
	v_add_u32_e32 v20, v22, v20
	v_add_u32_e32 v22, -1, v20
	v_cvt_f32_u32_e32 v22, v22
	v_fma_f32 v22, v22, s47, 0
	v_mul_f32_e32 v22, v22, v22
	v_fmac_f32_e32 v22, v21, v21
	v_cmp_gt_f32_e32 vcc, s48, v22
	v_mul_f32_e32 v21, 0x4f800000, v22
	v_cndmask_b32_e32 v21, v22, v21, vcc
	v_sqrt_f32_e32 v22, v21
	v_add_u32_e32 v23, -1, v22
	v_fma_f32 v24, -v23, v22, v21
	v_cmp_ge_f32_e64 s[40:41], 0, v24
	v_add_u32_e32 v24, 1, v22
	v_cndmask_b32_e64 v23, v22, v23, s[40:41]
	v_fma_f32 v22, -v24, v22, v21
	v_cmp_lt_f32_e64 s[40:41], 0, v22
	v_cndmask_b32_e64 v22, v23, v24, s[40:41]
	v_mul_f32_e32 v23, 0x37800000, v22
	v_cndmask_b32_e32 v22, v22, v23, vcc
	v_cmp_class_f32_e32 vcc, v21, v18
	v_cndmask_b32_e32 v21, v22, v21, vcc
	v_cmp_nge_f32_e32 vcc, 1.0, v21
	v_add_f32_e32 v21, 1.0, v19
	v_cndmask_b32_e32 v19, v21, v19, vcc
	v_mul_hi_u32 v21, v20, s45
	v_lshrrev_b32_e32 v21, 15, v21
	v_mul_u32_u24_e32 v22, 0xadc8, v21
	v_sub_u32_e32 v20, v20, v22
	v_mul_lo_u32 v20, v20, s46
	v_mul_u32_u24_e32 v21, 0xd47, v21
	v_xor_b32_e32 v22, 0x7fffffff, v21
	v_cmp_lt_u32_e32 vcc, v20, v21
	v_sub_u32_e32 v21, 0, v21
	v_cndmask_b32_e32 v21, v21, v22, vcc
	v_add_u32_e32 v20, v21, v20
	v_mul_hi_u32 v22, v20, s45
	v_add_u32_e32 v21, -1, v20
	v_cvt_f32_u32_e32 v21, v21
	v_lshrrev_b32_e32 v22, 15, v22
	v_mul_u32_u24_e32 v23, 0xadc8, v22
	v_sub_u32_e32 v20, v20, v23
	v_mul_lo_u32 v20, v20, s46
	v_mul_u32_u24_e32 v22, 0xd47, v22
	v_xor_b32_e32 v23, 0x7fffffff, v22
	v_fma_f32 v21, v21, s47, 0
	v_cmp_lt_u32_e32 vcc, v20, v22
	v_sub_u32_e32 v22, 0, v22
	v_cndmask_b32_e32 v22, v22, v23, vcc
	v_add_u32_e32 v20, v22, v20
	v_add_u32_e32 v22, -1, v20
	v_cvt_f32_u32_e32 v22, v22
	v_fma_f32 v22, v22, s47, 0
	v_mul_f32_e32 v22, v22, v22
	v_fmac_f32_e32 v22, v21, v21
	v_cmp_gt_f32_e32 vcc, s48, v22
	v_mul_f32_e32 v21, 0x4f800000, v22
	v_cndmask_b32_e32 v21, v22, v21, vcc
	v_sqrt_f32_e32 v22, v21
	v_add_u32_e32 v23, -1, v22
	v_fma_f32 v24, -v23, v22, v21
	v_cmp_ge_f32_e64 s[40:41], 0, v24
	v_add_u32_e32 v24, 1, v22
	v_cndmask_b32_e64 v23, v22, v23, s[40:41]
	v_fma_f32 v22, -v24, v22, v21
	v_cmp_lt_f32_e64 s[40:41], 0, v22
	v_cndmask_b32_e64 v22, v23, v24, s[40:41]
	v_mul_f32_e32 v23, 0x37800000, v22
	v_cndmask_b32_e32 v22, v22, v23, vcc
	v_cmp_class_f32_e32 vcc, v21, v18
	v_cndmask_b32_e32 v21, v22, v21, vcc
	v_cmp_nge_f32_e32 vcc, 1.0, v21
	v_add_f32_e32 v21, 1.0, v19
	v_cndmask_b32_e32 v19, v21, v19, vcc
	s_cbranch_scc1 .LBB31_190
; %bb.191:
	v_mul_f32_e32 v18, 4.0, v19
	s_mov_b32 s44, 0x461c4000
	v_div_scale_f32 v19, s[40:41], s44, s44, v18
	v_div_scale_f32 v20, vcc, v18, s44, v18
	v_rcp_f32_e32 v21, v19
	v_fma_f32 v22, -v19, v21, 1.0
	v_fmac_f32_e32 v21, v22, v21
	v_mul_f32_e32 v22, v20, v21
	v_fma_f32 v23, -v19, v22, v20
	v_fmac_f32_e32 v22, v23, v21
	v_fma_f32 v19, -v19, v22, v20
	v_div_fmas_f32 v19, v19, v21, v22
	v_div_fixup_f32 v18, v19, s44, v18
.LBB31_192:
	s_or_b64 exec, exec, s[42:43]
	v_or_b32_e32 v20, 0x1200, v0
	v_cmp_gt_u32_e64 s[40:41], s80, v20
                                        ; implicit-def: $vgpr19
	s_and_saveexec_b64 s[44:45], s[40:41]
	s_cbranch_execz .LBB31_196
; %bb.193:
	v_add_u32_e32 v19, s33, v20
	v_lshlrev_b32_e32 v20, 12, v19
	s_mov_b32 s42, 0x7ed55d16
	v_add3_u32 v19, v19, v20, s42
	v_lshrrev_b32_e32 v20, 19, v19
	v_xor_b32_e32 v19, v19, v20
	v_xor_b32_e32 v19, 0xc761c23c, v19
	v_lshl_add_u32 v19, v19, 5, v19
	v_mov_b32_e32 v21, 0xaccf6200
	v_add_u32_e32 v20, 0xe9f8cc1d, v19
	v_lshl_add_u32 v19, v19, 9, v21
	v_xor_b32_e32 v19, v20, v19
	v_lshlrev_b32_e32 v20, 3, v19
	s_mov_b32 s42, 0xfd7046c5
	v_add3_u32 v19, v19, v20, s42
	v_xor_b32_sdwa v19, v19, v19 dst_sel:DWORD dst_unused:UNUSED_PAD src0_sel:DWORD src1_sel:WORD_1
	v_xor_b32_e32 v19, 0xb55a4f09, v19
	v_mul_hi_u32 v20, v19, 3
	s_brev_b32 s42, -2
	s_movk_i32 s46, 0x2710
	s_mov_b32 s47, 0xbc8f1391
	v_sub_u32_e32 v21, v19, v20
	v_lshrrev_b32_e32 v21, 1, v21
	v_add_u32_e32 v20, v21, v20
	v_lshrrev_b32_e32 v20, 30, v20
	v_mul_lo_u32 v21, v20, s42
	v_mov_b32_e32 v20, 0
	s_mov_b32 s48, 0xbc8f
	s_brev_b32 s49, 12
	v_sub_u32_e32 v19, v19, v21
	v_max_u32_e32 v21, 1, v19
	s_mov_b32 s50, 0xf800000
	v_mov_b32_e32 v19, 0x260
.LBB31_194:                             ; =>This Inner Loop Header: Depth=1
	v_mul_hi_u32 v22, v21, s47
	s_add_i32 s46, s46, -2
	s_cmp_lg_u32 s46, 0
	v_lshrrev_b32_e32 v22, 15, v22
	v_mul_u32_u24_e32 v23, 0xadc8, v22
	v_sub_u32_e32 v21, v21, v23
	v_mul_lo_u32 v21, v21, s48
	v_mul_u32_u24_e32 v22, 0xd47, v22
	v_xor_b32_e32 v23, 0x7fffffff, v22
	v_cmp_lt_u32_e32 vcc, v21, v22
	v_sub_u32_e32 v22, 0, v22
	v_cndmask_b32_e32 v22, v22, v23, vcc
	v_add_u32_e32 v21, v22, v21
	v_mul_hi_u32 v23, v21, s47
	v_add_u32_e32 v22, -1, v21
	v_cvt_f32_u32_e32 v22, v22
	v_lshrrev_b32_e32 v23, 15, v23
	v_mul_u32_u24_e32 v24, 0xadc8, v23
	v_sub_u32_e32 v21, v21, v24
	v_mul_lo_u32 v21, v21, s48
	v_mul_u32_u24_e32 v23, 0xd47, v23
	v_xor_b32_e32 v24, 0x7fffffff, v23
	v_fma_f32 v22, v22, s49, 0
	v_cmp_lt_u32_e32 vcc, v21, v23
	v_sub_u32_e32 v23, 0, v23
	v_cndmask_b32_e32 v23, v23, v24, vcc
	v_add_u32_e32 v21, v23, v21
	v_add_u32_e32 v23, -1, v21
	v_cvt_f32_u32_e32 v23, v23
	v_fma_f32 v23, v23, s49, 0
	v_mul_f32_e32 v23, v23, v23
	v_fmac_f32_e32 v23, v22, v22
	v_cmp_gt_f32_e32 vcc, s50, v23
	v_mul_f32_e32 v22, 0x4f800000, v23
	v_cndmask_b32_e32 v22, v23, v22, vcc
	v_sqrt_f32_e32 v23, v22
	v_add_u32_e32 v24, -1, v23
	v_fma_f32 v25, -v24, v23, v22
	v_cmp_ge_f32_e64 s[42:43], 0, v25
	v_add_u32_e32 v25, 1, v23
	v_cndmask_b32_e64 v24, v23, v24, s[42:43]
	v_fma_f32 v23, -v25, v23, v22
	v_cmp_lt_f32_e64 s[42:43], 0, v23
	v_cndmask_b32_e64 v23, v24, v25, s[42:43]
	v_mul_f32_e32 v24, 0x37800000, v23
	v_cndmask_b32_e32 v23, v23, v24, vcc
	v_cmp_class_f32_e32 vcc, v22, v19
	v_cndmask_b32_e32 v22, v23, v22, vcc
	v_cmp_nge_f32_e32 vcc, 1.0, v22
	v_add_f32_e32 v22, 1.0, v20
	v_cndmask_b32_e32 v20, v22, v20, vcc
	v_mul_hi_u32 v22, v21, s47
	v_lshrrev_b32_e32 v22, 15, v22
	v_mul_u32_u24_e32 v23, 0xadc8, v22
	v_sub_u32_e32 v21, v21, v23
	v_mul_lo_u32 v21, v21, s48
	v_mul_u32_u24_e32 v22, 0xd47, v22
	v_xor_b32_e32 v23, 0x7fffffff, v22
	v_cmp_lt_u32_e32 vcc, v21, v22
	v_sub_u32_e32 v22, 0, v22
	v_cndmask_b32_e32 v22, v22, v23, vcc
	v_add_u32_e32 v21, v22, v21
	v_mul_hi_u32 v23, v21, s47
	v_add_u32_e32 v22, -1, v21
	v_cvt_f32_u32_e32 v22, v22
	v_lshrrev_b32_e32 v23, 15, v23
	v_mul_u32_u24_e32 v24, 0xadc8, v23
	v_sub_u32_e32 v21, v21, v24
	v_mul_lo_u32 v21, v21, s48
	v_mul_u32_u24_e32 v23, 0xd47, v23
	v_xor_b32_e32 v24, 0x7fffffff, v23
	v_fma_f32 v22, v22, s49, 0
	v_cmp_lt_u32_e32 vcc, v21, v23
	v_sub_u32_e32 v23, 0, v23
	v_cndmask_b32_e32 v23, v23, v24, vcc
	v_add_u32_e32 v21, v23, v21
	v_add_u32_e32 v23, -1, v21
	v_cvt_f32_u32_e32 v23, v23
	v_fma_f32 v23, v23, s49, 0
	v_mul_f32_e32 v23, v23, v23
	v_fmac_f32_e32 v23, v22, v22
	v_cmp_gt_f32_e32 vcc, s50, v23
	v_mul_f32_e32 v22, 0x4f800000, v23
	v_cndmask_b32_e32 v22, v23, v22, vcc
	v_sqrt_f32_e32 v23, v22
	v_add_u32_e32 v24, -1, v23
	v_fma_f32 v25, -v24, v23, v22
	v_cmp_ge_f32_e64 s[42:43], 0, v25
	v_add_u32_e32 v25, 1, v23
	v_cndmask_b32_e64 v24, v23, v24, s[42:43]
	v_fma_f32 v23, -v25, v23, v22
	v_cmp_lt_f32_e64 s[42:43], 0, v23
	v_cndmask_b32_e64 v23, v24, v25, s[42:43]
	v_mul_f32_e32 v24, 0x37800000, v23
	v_cndmask_b32_e32 v23, v23, v24, vcc
	v_cmp_class_f32_e32 vcc, v22, v19
	v_cndmask_b32_e32 v22, v23, v22, vcc
	v_cmp_nge_f32_e32 vcc, 1.0, v22
	v_add_f32_e32 v22, 1.0, v20
	v_cndmask_b32_e32 v20, v22, v20, vcc
	s_cbranch_scc1 .LBB31_194
; %bb.195:
	v_mul_f32_e32 v19, 4.0, v20
	s_mov_b32 s46, 0x461c4000
	v_div_scale_f32 v20, s[42:43], s46, s46, v19
	v_div_scale_f32 v21, vcc, v19, s46, v19
	v_rcp_f32_e32 v22, v20
	v_fma_f32 v23, -v20, v22, 1.0
	v_fmac_f32_e32 v22, v23, v22
	v_mul_f32_e32 v23, v21, v22
	v_fma_f32 v24, -v20, v23, v21
	v_fmac_f32_e32 v23, v24, v22
	v_fma_f32 v20, -v20, v23, v21
	v_div_fmas_f32 v20, v20, v22, v23
	v_div_fixup_f32 v19, v20, s46, v19
.LBB31_196:
	s_or_b64 exec, exec, s[44:45]
	v_or_b32_e32 v21, 0x1300, v0
	v_cmp_gt_u32_e64 s[42:43], s80, v21
                                        ; implicit-def: $vgpr20
	s_and_saveexec_b64 s[46:47], s[42:43]
	s_cbranch_execz .LBB31_200
; %bb.197:
	v_add_u32_e32 v20, s33, v21
	v_lshlrev_b32_e32 v21, 12, v20
	s_mov_b32 s44, 0x7ed55d16
	v_add3_u32 v20, v20, v21, s44
	v_lshrrev_b32_e32 v21, 19, v20
	v_xor_b32_e32 v20, v20, v21
	v_xor_b32_e32 v20, 0xc761c23c, v20
	v_lshl_add_u32 v20, v20, 5, v20
	v_mov_b32_e32 v22, 0xaccf6200
	v_add_u32_e32 v21, 0xe9f8cc1d, v20
	v_lshl_add_u32 v20, v20, 9, v22
	v_xor_b32_e32 v20, v21, v20
	v_lshlrev_b32_e32 v21, 3, v20
	s_mov_b32 s44, 0xfd7046c5
	v_add3_u32 v20, v20, v21, s44
	v_xor_b32_sdwa v20, v20, v20 dst_sel:DWORD dst_unused:UNUSED_PAD src0_sel:DWORD src1_sel:WORD_1
	v_xor_b32_e32 v20, 0xb55a4f09, v20
	v_mul_hi_u32 v21, v20, 3
	s_brev_b32 s44, -2
	s_movk_i32 s48, 0x2710
	s_mov_b32 s49, 0xbc8f1391
	v_sub_u32_e32 v22, v20, v21
	v_lshrrev_b32_e32 v22, 1, v22
	v_add_u32_e32 v21, v22, v21
	v_lshrrev_b32_e32 v21, 30, v21
	v_mul_lo_u32 v22, v21, s44
	v_mov_b32_e32 v21, 0
	s_mov_b32 s50, 0xbc8f
	s_brev_b32 s51, 12
	v_sub_u32_e32 v20, v20, v22
	v_max_u32_e32 v22, 1, v20
	s_mov_b32 s52, 0xf800000
	v_mov_b32_e32 v20, 0x260
.LBB31_198:                             ; =>This Inner Loop Header: Depth=1
	v_mul_hi_u32 v23, v22, s49
	s_add_i32 s48, s48, -2
	s_cmp_lg_u32 s48, 0
	v_lshrrev_b32_e32 v23, 15, v23
	v_mul_u32_u24_e32 v24, 0xadc8, v23
	v_sub_u32_e32 v22, v22, v24
	v_mul_lo_u32 v22, v22, s50
	v_mul_u32_u24_e32 v23, 0xd47, v23
	v_xor_b32_e32 v24, 0x7fffffff, v23
	v_cmp_lt_u32_e32 vcc, v22, v23
	v_sub_u32_e32 v23, 0, v23
	v_cndmask_b32_e32 v23, v23, v24, vcc
	v_add_u32_e32 v22, v23, v22
	v_mul_hi_u32 v24, v22, s49
	v_add_u32_e32 v23, -1, v22
	v_cvt_f32_u32_e32 v23, v23
	v_lshrrev_b32_e32 v24, 15, v24
	v_mul_u32_u24_e32 v25, 0xadc8, v24
	v_sub_u32_e32 v22, v22, v25
	v_mul_lo_u32 v22, v22, s50
	v_mul_u32_u24_e32 v24, 0xd47, v24
	v_xor_b32_e32 v25, 0x7fffffff, v24
	v_fma_f32 v23, v23, s51, 0
	v_cmp_lt_u32_e32 vcc, v22, v24
	v_sub_u32_e32 v24, 0, v24
	v_cndmask_b32_e32 v24, v24, v25, vcc
	v_add_u32_e32 v22, v24, v22
	v_add_u32_e32 v24, -1, v22
	v_cvt_f32_u32_e32 v24, v24
	v_fma_f32 v24, v24, s51, 0
	v_mul_f32_e32 v24, v24, v24
	v_fmac_f32_e32 v24, v23, v23
	v_cmp_gt_f32_e32 vcc, s52, v24
	v_mul_f32_e32 v23, 0x4f800000, v24
	v_cndmask_b32_e32 v23, v24, v23, vcc
	v_sqrt_f32_e32 v24, v23
	v_add_u32_e32 v25, -1, v24
	v_fma_f32 v26, -v25, v24, v23
	v_cmp_ge_f32_e64 s[44:45], 0, v26
	v_add_u32_e32 v26, 1, v24
	v_cndmask_b32_e64 v25, v24, v25, s[44:45]
	v_fma_f32 v24, -v26, v24, v23
	v_cmp_lt_f32_e64 s[44:45], 0, v24
	v_cndmask_b32_e64 v24, v25, v26, s[44:45]
	v_mul_f32_e32 v25, 0x37800000, v24
	v_cndmask_b32_e32 v24, v24, v25, vcc
	v_cmp_class_f32_e32 vcc, v23, v20
	v_cndmask_b32_e32 v23, v24, v23, vcc
	v_cmp_nge_f32_e32 vcc, 1.0, v23
	v_add_f32_e32 v23, 1.0, v21
	v_cndmask_b32_e32 v21, v23, v21, vcc
	v_mul_hi_u32 v23, v22, s49
	v_lshrrev_b32_e32 v23, 15, v23
	v_mul_u32_u24_e32 v24, 0xadc8, v23
	v_sub_u32_e32 v22, v22, v24
	v_mul_lo_u32 v22, v22, s50
	v_mul_u32_u24_e32 v23, 0xd47, v23
	v_xor_b32_e32 v24, 0x7fffffff, v23
	v_cmp_lt_u32_e32 vcc, v22, v23
	v_sub_u32_e32 v23, 0, v23
	v_cndmask_b32_e32 v23, v23, v24, vcc
	v_add_u32_e32 v22, v23, v22
	v_mul_hi_u32 v24, v22, s49
	v_add_u32_e32 v23, -1, v22
	v_cvt_f32_u32_e32 v23, v23
	v_lshrrev_b32_e32 v24, 15, v24
	v_mul_u32_u24_e32 v25, 0xadc8, v24
	v_sub_u32_e32 v22, v22, v25
	v_mul_lo_u32 v22, v22, s50
	v_mul_u32_u24_e32 v24, 0xd47, v24
	v_xor_b32_e32 v25, 0x7fffffff, v24
	v_fma_f32 v23, v23, s51, 0
	v_cmp_lt_u32_e32 vcc, v22, v24
	v_sub_u32_e32 v24, 0, v24
	v_cndmask_b32_e32 v24, v24, v25, vcc
	v_add_u32_e32 v22, v24, v22
	v_add_u32_e32 v24, -1, v22
	v_cvt_f32_u32_e32 v24, v24
	v_fma_f32 v24, v24, s51, 0
	v_mul_f32_e32 v24, v24, v24
	v_fmac_f32_e32 v24, v23, v23
	v_cmp_gt_f32_e32 vcc, s52, v24
	v_mul_f32_e32 v23, 0x4f800000, v24
	v_cndmask_b32_e32 v23, v24, v23, vcc
	v_sqrt_f32_e32 v24, v23
	v_add_u32_e32 v25, -1, v24
	v_fma_f32 v26, -v25, v24, v23
	v_cmp_ge_f32_e64 s[44:45], 0, v26
	v_add_u32_e32 v26, 1, v24
	v_cndmask_b32_e64 v25, v24, v25, s[44:45]
	v_fma_f32 v24, -v26, v24, v23
	v_cmp_lt_f32_e64 s[44:45], 0, v24
	v_cndmask_b32_e64 v24, v25, v26, s[44:45]
	v_mul_f32_e32 v25, 0x37800000, v24
	v_cndmask_b32_e32 v24, v24, v25, vcc
	v_cmp_class_f32_e32 vcc, v23, v20
	v_cndmask_b32_e32 v23, v24, v23, vcc
	v_cmp_nge_f32_e32 vcc, 1.0, v23
	v_add_f32_e32 v23, 1.0, v21
	v_cndmask_b32_e32 v21, v23, v21, vcc
	s_cbranch_scc1 .LBB31_198
; %bb.199:
	v_mul_f32_e32 v20, 4.0, v21
	s_mov_b32 s48, 0x461c4000
	v_div_scale_f32 v21, s[44:45], s48, s48, v20
	v_div_scale_f32 v22, vcc, v20, s48, v20
	v_rcp_f32_e32 v23, v21
	v_fma_f32 v24, -v21, v23, 1.0
	v_fmac_f32_e32 v23, v24, v23
	v_mul_f32_e32 v24, v22, v23
	v_fma_f32 v25, -v21, v24, v22
	v_fmac_f32_e32 v24, v25, v23
	v_fma_f32 v21, -v21, v24, v22
	v_div_fmas_f32 v21, v21, v23, v24
	v_div_fixup_f32 v20, v21, s48, v20
.LBB31_200:
	s_or_b64 exec, exec, s[46:47]
	v_or_b32_e32 v22, 0x1400, v0
	v_cmp_gt_u32_e64 s[44:45], s80, v22
                                        ; implicit-def: $vgpr21
	s_and_saveexec_b64 s[48:49], s[44:45]
	s_cbranch_execz .LBB31_204
; %bb.201:
	v_add_u32_e32 v21, s33, v22
	v_lshlrev_b32_e32 v22, 12, v21
	s_mov_b32 s46, 0x7ed55d16
	v_add3_u32 v21, v21, v22, s46
	v_lshrrev_b32_e32 v22, 19, v21
	v_xor_b32_e32 v21, v21, v22
	v_xor_b32_e32 v21, 0xc761c23c, v21
	v_lshl_add_u32 v21, v21, 5, v21
	v_mov_b32_e32 v23, 0xaccf6200
	v_add_u32_e32 v22, 0xe9f8cc1d, v21
	v_lshl_add_u32 v21, v21, 9, v23
	v_xor_b32_e32 v21, v22, v21
	v_lshlrev_b32_e32 v22, 3, v21
	s_mov_b32 s46, 0xfd7046c5
	v_add3_u32 v21, v21, v22, s46
	v_xor_b32_sdwa v21, v21, v21 dst_sel:DWORD dst_unused:UNUSED_PAD src0_sel:DWORD src1_sel:WORD_1
	v_xor_b32_e32 v21, 0xb55a4f09, v21
	v_mul_hi_u32 v22, v21, 3
	s_brev_b32 s46, -2
	s_movk_i32 s50, 0x2710
	s_mov_b32 s51, 0xbc8f1391
	v_sub_u32_e32 v23, v21, v22
	v_lshrrev_b32_e32 v23, 1, v23
	v_add_u32_e32 v22, v23, v22
	v_lshrrev_b32_e32 v22, 30, v22
	v_mul_lo_u32 v23, v22, s46
	v_mov_b32_e32 v22, 0
	s_mov_b32 s52, 0xbc8f
	s_brev_b32 s53, 12
	v_sub_u32_e32 v21, v21, v23
	v_max_u32_e32 v23, 1, v21
	s_mov_b32 s54, 0xf800000
	v_mov_b32_e32 v21, 0x260
.LBB31_202:                             ; =>This Inner Loop Header: Depth=1
	v_mul_hi_u32 v24, v23, s51
	s_add_i32 s50, s50, -2
	s_cmp_lg_u32 s50, 0
	v_lshrrev_b32_e32 v24, 15, v24
	v_mul_u32_u24_e32 v25, 0xadc8, v24
	v_sub_u32_e32 v23, v23, v25
	v_mul_lo_u32 v23, v23, s52
	v_mul_u32_u24_e32 v24, 0xd47, v24
	v_xor_b32_e32 v25, 0x7fffffff, v24
	v_cmp_lt_u32_e32 vcc, v23, v24
	v_sub_u32_e32 v24, 0, v24
	v_cndmask_b32_e32 v24, v24, v25, vcc
	v_add_u32_e32 v23, v24, v23
	v_mul_hi_u32 v25, v23, s51
	v_add_u32_e32 v24, -1, v23
	v_cvt_f32_u32_e32 v24, v24
	v_lshrrev_b32_e32 v25, 15, v25
	v_mul_u32_u24_e32 v26, 0xadc8, v25
	v_sub_u32_e32 v23, v23, v26
	v_mul_lo_u32 v23, v23, s52
	v_mul_u32_u24_e32 v25, 0xd47, v25
	v_xor_b32_e32 v26, 0x7fffffff, v25
	v_fma_f32 v24, v24, s53, 0
	v_cmp_lt_u32_e32 vcc, v23, v25
	v_sub_u32_e32 v25, 0, v25
	v_cndmask_b32_e32 v25, v25, v26, vcc
	v_add_u32_e32 v23, v25, v23
	v_add_u32_e32 v25, -1, v23
	v_cvt_f32_u32_e32 v25, v25
	v_fma_f32 v25, v25, s53, 0
	v_mul_f32_e32 v25, v25, v25
	v_fmac_f32_e32 v25, v24, v24
	v_cmp_gt_f32_e32 vcc, s54, v25
	v_mul_f32_e32 v24, 0x4f800000, v25
	v_cndmask_b32_e32 v24, v25, v24, vcc
	v_sqrt_f32_e32 v25, v24
	v_add_u32_e32 v26, -1, v25
	v_fma_f32 v27, -v26, v25, v24
	v_cmp_ge_f32_e64 s[46:47], 0, v27
	v_add_u32_e32 v27, 1, v25
	v_cndmask_b32_e64 v26, v25, v26, s[46:47]
	v_fma_f32 v25, -v27, v25, v24
	v_cmp_lt_f32_e64 s[46:47], 0, v25
	v_cndmask_b32_e64 v25, v26, v27, s[46:47]
	v_mul_f32_e32 v26, 0x37800000, v25
	v_cndmask_b32_e32 v25, v25, v26, vcc
	v_cmp_class_f32_e32 vcc, v24, v21
	v_cndmask_b32_e32 v24, v25, v24, vcc
	v_cmp_nge_f32_e32 vcc, 1.0, v24
	v_add_f32_e32 v24, 1.0, v22
	v_cndmask_b32_e32 v22, v24, v22, vcc
	v_mul_hi_u32 v24, v23, s51
	v_lshrrev_b32_e32 v24, 15, v24
	v_mul_u32_u24_e32 v25, 0xadc8, v24
	v_sub_u32_e32 v23, v23, v25
	v_mul_lo_u32 v23, v23, s52
	v_mul_u32_u24_e32 v24, 0xd47, v24
	v_xor_b32_e32 v25, 0x7fffffff, v24
	v_cmp_lt_u32_e32 vcc, v23, v24
	v_sub_u32_e32 v24, 0, v24
	v_cndmask_b32_e32 v24, v24, v25, vcc
	v_add_u32_e32 v23, v24, v23
	v_mul_hi_u32 v25, v23, s51
	v_add_u32_e32 v24, -1, v23
	v_cvt_f32_u32_e32 v24, v24
	v_lshrrev_b32_e32 v25, 15, v25
	v_mul_u32_u24_e32 v26, 0xadc8, v25
	v_sub_u32_e32 v23, v23, v26
	v_mul_lo_u32 v23, v23, s52
	v_mul_u32_u24_e32 v25, 0xd47, v25
	v_xor_b32_e32 v26, 0x7fffffff, v25
	v_fma_f32 v24, v24, s53, 0
	v_cmp_lt_u32_e32 vcc, v23, v25
	v_sub_u32_e32 v25, 0, v25
	v_cndmask_b32_e32 v25, v25, v26, vcc
	v_add_u32_e32 v23, v25, v23
	v_add_u32_e32 v25, -1, v23
	v_cvt_f32_u32_e32 v25, v25
	v_fma_f32 v25, v25, s53, 0
	v_mul_f32_e32 v25, v25, v25
	v_fmac_f32_e32 v25, v24, v24
	v_cmp_gt_f32_e32 vcc, s54, v25
	v_mul_f32_e32 v24, 0x4f800000, v25
	v_cndmask_b32_e32 v24, v25, v24, vcc
	v_sqrt_f32_e32 v25, v24
	v_add_u32_e32 v26, -1, v25
	v_fma_f32 v27, -v26, v25, v24
	v_cmp_ge_f32_e64 s[46:47], 0, v27
	v_add_u32_e32 v27, 1, v25
	v_cndmask_b32_e64 v26, v25, v26, s[46:47]
	v_fma_f32 v25, -v27, v25, v24
	v_cmp_lt_f32_e64 s[46:47], 0, v25
	v_cndmask_b32_e64 v25, v26, v27, s[46:47]
	v_mul_f32_e32 v26, 0x37800000, v25
	v_cndmask_b32_e32 v25, v25, v26, vcc
	v_cmp_class_f32_e32 vcc, v24, v21
	v_cndmask_b32_e32 v24, v25, v24, vcc
	v_cmp_nge_f32_e32 vcc, 1.0, v24
	v_add_f32_e32 v24, 1.0, v22
	v_cndmask_b32_e32 v22, v24, v22, vcc
	s_cbranch_scc1 .LBB31_202
; %bb.203:
	v_mul_f32_e32 v21, 4.0, v22
	s_mov_b32 s50, 0x461c4000
	v_div_scale_f32 v22, s[46:47], s50, s50, v21
	v_div_scale_f32 v23, vcc, v21, s50, v21
	v_rcp_f32_e32 v24, v22
	v_fma_f32 v25, -v22, v24, 1.0
	v_fmac_f32_e32 v24, v25, v24
	v_mul_f32_e32 v25, v23, v24
	v_fma_f32 v26, -v22, v25, v23
	v_fmac_f32_e32 v25, v26, v24
	v_fma_f32 v22, -v22, v25, v23
	v_div_fmas_f32 v22, v22, v24, v25
	v_div_fixup_f32 v21, v22, s50, v21
.LBB31_204:
	s_or_b64 exec, exec, s[48:49]
	v_or_b32_e32 v23, 0x1500, v0
	v_cmp_gt_u32_e64 s[46:47], s80, v23
                                        ; implicit-def: $vgpr22
	s_and_saveexec_b64 s[50:51], s[46:47]
	s_cbranch_execz .LBB31_208
; %bb.205:
	v_add_u32_e32 v22, s33, v23
	v_lshlrev_b32_e32 v23, 12, v22
	s_mov_b32 s48, 0x7ed55d16
	v_add3_u32 v22, v22, v23, s48
	v_lshrrev_b32_e32 v23, 19, v22
	v_xor_b32_e32 v22, v22, v23
	v_xor_b32_e32 v22, 0xc761c23c, v22
	v_lshl_add_u32 v22, v22, 5, v22
	v_mov_b32_e32 v24, 0xaccf6200
	v_add_u32_e32 v23, 0xe9f8cc1d, v22
	v_lshl_add_u32 v22, v22, 9, v24
	v_xor_b32_e32 v22, v23, v22
	v_lshlrev_b32_e32 v23, 3, v22
	s_mov_b32 s48, 0xfd7046c5
	v_add3_u32 v22, v22, v23, s48
	v_xor_b32_sdwa v22, v22, v22 dst_sel:DWORD dst_unused:UNUSED_PAD src0_sel:DWORD src1_sel:WORD_1
	v_xor_b32_e32 v22, 0xb55a4f09, v22
	v_mul_hi_u32 v23, v22, 3
	s_brev_b32 s48, -2
	s_movk_i32 s52, 0x2710
	s_mov_b32 s53, 0xbc8f1391
	v_sub_u32_e32 v24, v22, v23
	v_lshrrev_b32_e32 v24, 1, v24
	v_add_u32_e32 v23, v24, v23
	v_lshrrev_b32_e32 v23, 30, v23
	v_mul_lo_u32 v24, v23, s48
	v_mov_b32_e32 v23, 0
	s_mov_b32 s54, 0xbc8f
	s_brev_b32 s55, 12
	v_sub_u32_e32 v22, v22, v24
	v_max_u32_e32 v24, 1, v22
	s_mov_b32 s56, 0xf800000
	v_mov_b32_e32 v22, 0x260
.LBB31_206:                             ; =>This Inner Loop Header: Depth=1
	v_mul_hi_u32 v25, v24, s53
	s_add_i32 s52, s52, -2
	s_cmp_lg_u32 s52, 0
	v_lshrrev_b32_e32 v25, 15, v25
	v_mul_u32_u24_e32 v26, 0xadc8, v25
	v_sub_u32_e32 v24, v24, v26
	v_mul_lo_u32 v24, v24, s54
	v_mul_u32_u24_e32 v25, 0xd47, v25
	v_xor_b32_e32 v26, 0x7fffffff, v25
	v_cmp_lt_u32_e32 vcc, v24, v25
	v_sub_u32_e32 v25, 0, v25
	v_cndmask_b32_e32 v25, v25, v26, vcc
	v_add_u32_e32 v24, v25, v24
	v_mul_hi_u32 v26, v24, s53
	v_add_u32_e32 v25, -1, v24
	v_cvt_f32_u32_e32 v25, v25
	v_lshrrev_b32_e32 v26, 15, v26
	v_mul_u32_u24_e32 v27, 0xadc8, v26
	v_sub_u32_e32 v24, v24, v27
	v_mul_lo_u32 v24, v24, s54
	v_mul_u32_u24_e32 v26, 0xd47, v26
	v_xor_b32_e32 v27, 0x7fffffff, v26
	v_fma_f32 v25, v25, s55, 0
	v_cmp_lt_u32_e32 vcc, v24, v26
	v_sub_u32_e32 v26, 0, v26
	v_cndmask_b32_e32 v26, v26, v27, vcc
	v_add_u32_e32 v24, v26, v24
	v_add_u32_e32 v26, -1, v24
	v_cvt_f32_u32_e32 v26, v26
	v_fma_f32 v26, v26, s55, 0
	v_mul_f32_e32 v26, v26, v26
	v_fmac_f32_e32 v26, v25, v25
	v_cmp_gt_f32_e32 vcc, s56, v26
	v_mul_f32_e32 v25, 0x4f800000, v26
	v_cndmask_b32_e32 v25, v26, v25, vcc
	v_sqrt_f32_e32 v26, v25
	v_add_u32_e32 v27, -1, v26
	v_fma_f32 v28, -v27, v26, v25
	v_cmp_ge_f32_e64 s[48:49], 0, v28
	v_add_u32_e32 v28, 1, v26
	v_cndmask_b32_e64 v27, v26, v27, s[48:49]
	v_fma_f32 v26, -v28, v26, v25
	v_cmp_lt_f32_e64 s[48:49], 0, v26
	v_cndmask_b32_e64 v26, v27, v28, s[48:49]
	v_mul_f32_e32 v27, 0x37800000, v26
	v_cndmask_b32_e32 v26, v26, v27, vcc
	v_cmp_class_f32_e32 vcc, v25, v22
	v_cndmask_b32_e32 v25, v26, v25, vcc
	v_cmp_nge_f32_e32 vcc, 1.0, v25
	v_add_f32_e32 v25, 1.0, v23
	v_cndmask_b32_e32 v23, v25, v23, vcc
	v_mul_hi_u32 v25, v24, s53
	v_lshrrev_b32_e32 v25, 15, v25
	v_mul_u32_u24_e32 v26, 0xadc8, v25
	v_sub_u32_e32 v24, v24, v26
	v_mul_lo_u32 v24, v24, s54
	v_mul_u32_u24_e32 v25, 0xd47, v25
	v_xor_b32_e32 v26, 0x7fffffff, v25
	v_cmp_lt_u32_e32 vcc, v24, v25
	v_sub_u32_e32 v25, 0, v25
	v_cndmask_b32_e32 v25, v25, v26, vcc
	v_add_u32_e32 v24, v25, v24
	v_mul_hi_u32 v26, v24, s53
	v_add_u32_e32 v25, -1, v24
	v_cvt_f32_u32_e32 v25, v25
	v_lshrrev_b32_e32 v26, 15, v26
	v_mul_u32_u24_e32 v27, 0xadc8, v26
	v_sub_u32_e32 v24, v24, v27
	v_mul_lo_u32 v24, v24, s54
	v_mul_u32_u24_e32 v26, 0xd47, v26
	v_xor_b32_e32 v27, 0x7fffffff, v26
	v_fma_f32 v25, v25, s55, 0
	v_cmp_lt_u32_e32 vcc, v24, v26
	v_sub_u32_e32 v26, 0, v26
	v_cndmask_b32_e32 v26, v26, v27, vcc
	v_add_u32_e32 v24, v26, v24
	v_add_u32_e32 v26, -1, v24
	v_cvt_f32_u32_e32 v26, v26
	v_fma_f32 v26, v26, s55, 0
	v_mul_f32_e32 v26, v26, v26
	v_fmac_f32_e32 v26, v25, v25
	v_cmp_gt_f32_e32 vcc, s56, v26
	v_mul_f32_e32 v25, 0x4f800000, v26
	v_cndmask_b32_e32 v25, v26, v25, vcc
	v_sqrt_f32_e32 v26, v25
	v_add_u32_e32 v27, -1, v26
	v_fma_f32 v28, -v27, v26, v25
	v_cmp_ge_f32_e64 s[48:49], 0, v28
	v_add_u32_e32 v28, 1, v26
	v_cndmask_b32_e64 v27, v26, v27, s[48:49]
	v_fma_f32 v26, -v28, v26, v25
	v_cmp_lt_f32_e64 s[48:49], 0, v26
	v_cndmask_b32_e64 v26, v27, v28, s[48:49]
	v_mul_f32_e32 v27, 0x37800000, v26
	v_cndmask_b32_e32 v26, v26, v27, vcc
	v_cmp_class_f32_e32 vcc, v25, v22
	v_cndmask_b32_e32 v25, v26, v25, vcc
	v_cmp_nge_f32_e32 vcc, 1.0, v25
	v_add_f32_e32 v25, 1.0, v23
	v_cndmask_b32_e32 v23, v25, v23, vcc
	s_cbranch_scc1 .LBB31_206
; %bb.207:
	v_mul_f32_e32 v22, 4.0, v23
	s_mov_b32 s52, 0x461c4000
	v_div_scale_f32 v23, s[48:49], s52, s52, v22
	v_div_scale_f32 v24, vcc, v22, s52, v22
	v_rcp_f32_e32 v25, v23
	v_fma_f32 v26, -v23, v25, 1.0
	v_fmac_f32_e32 v25, v26, v25
	v_mul_f32_e32 v26, v24, v25
	v_fma_f32 v27, -v23, v26, v24
	v_fmac_f32_e32 v26, v27, v25
	v_fma_f32 v23, -v23, v26, v24
	v_div_fmas_f32 v23, v23, v25, v26
	v_div_fixup_f32 v22, v23, s52, v22
.LBB31_208:
	s_or_b64 exec, exec, s[50:51]
	v_or_b32_e32 v24, 0x1600, v0
	v_cmp_gt_u32_e64 s[48:49], s80, v24
                                        ; implicit-def: $vgpr23
	s_and_saveexec_b64 s[52:53], s[48:49]
	s_cbranch_execz .LBB31_212
; %bb.209:
	v_add_u32_e32 v23, s33, v24
	v_lshlrev_b32_e32 v24, 12, v23
	s_mov_b32 s50, 0x7ed55d16
	v_add3_u32 v23, v23, v24, s50
	v_lshrrev_b32_e32 v24, 19, v23
	v_xor_b32_e32 v23, v23, v24
	v_xor_b32_e32 v23, 0xc761c23c, v23
	v_lshl_add_u32 v23, v23, 5, v23
	v_mov_b32_e32 v25, 0xaccf6200
	v_add_u32_e32 v24, 0xe9f8cc1d, v23
	v_lshl_add_u32 v23, v23, 9, v25
	v_xor_b32_e32 v23, v24, v23
	v_lshlrev_b32_e32 v24, 3, v23
	s_mov_b32 s50, 0xfd7046c5
	v_add3_u32 v23, v23, v24, s50
	v_xor_b32_sdwa v23, v23, v23 dst_sel:DWORD dst_unused:UNUSED_PAD src0_sel:DWORD src1_sel:WORD_1
	v_xor_b32_e32 v23, 0xb55a4f09, v23
	v_mul_hi_u32 v24, v23, 3
	s_brev_b32 s50, -2
	s_movk_i32 s54, 0x2710
	s_mov_b32 s55, 0xbc8f1391
	v_sub_u32_e32 v25, v23, v24
	v_lshrrev_b32_e32 v25, 1, v25
	v_add_u32_e32 v24, v25, v24
	v_lshrrev_b32_e32 v24, 30, v24
	v_mul_lo_u32 v25, v24, s50
	v_mov_b32_e32 v24, 0
	s_mov_b32 s56, 0xbc8f
	s_brev_b32 s57, 12
	v_sub_u32_e32 v23, v23, v25
	v_max_u32_e32 v25, 1, v23
	s_mov_b32 s58, 0xf800000
	v_mov_b32_e32 v23, 0x260
.LBB31_210:                             ; =>This Inner Loop Header: Depth=1
	v_mul_hi_u32 v26, v25, s55
	s_add_i32 s54, s54, -2
	s_cmp_lg_u32 s54, 0
	v_lshrrev_b32_e32 v26, 15, v26
	v_mul_u32_u24_e32 v27, 0xadc8, v26
	v_sub_u32_e32 v25, v25, v27
	v_mul_lo_u32 v25, v25, s56
	v_mul_u32_u24_e32 v26, 0xd47, v26
	v_xor_b32_e32 v27, 0x7fffffff, v26
	v_cmp_lt_u32_e32 vcc, v25, v26
	v_sub_u32_e32 v26, 0, v26
	v_cndmask_b32_e32 v26, v26, v27, vcc
	v_add_u32_e32 v25, v26, v25
	v_mul_hi_u32 v27, v25, s55
	v_add_u32_e32 v26, -1, v25
	v_cvt_f32_u32_e32 v26, v26
	v_lshrrev_b32_e32 v27, 15, v27
	v_mul_u32_u24_e32 v28, 0xadc8, v27
	v_sub_u32_e32 v25, v25, v28
	v_mul_lo_u32 v25, v25, s56
	v_mul_u32_u24_e32 v27, 0xd47, v27
	v_xor_b32_e32 v28, 0x7fffffff, v27
	v_fma_f32 v26, v26, s57, 0
	v_cmp_lt_u32_e32 vcc, v25, v27
	v_sub_u32_e32 v27, 0, v27
	v_cndmask_b32_e32 v27, v27, v28, vcc
	v_add_u32_e32 v25, v27, v25
	v_add_u32_e32 v27, -1, v25
	v_cvt_f32_u32_e32 v27, v27
	v_fma_f32 v27, v27, s57, 0
	v_mul_f32_e32 v27, v27, v27
	v_fmac_f32_e32 v27, v26, v26
	v_cmp_gt_f32_e32 vcc, s58, v27
	v_mul_f32_e32 v26, 0x4f800000, v27
	v_cndmask_b32_e32 v26, v27, v26, vcc
	v_sqrt_f32_e32 v27, v26
	v_add_u32_e32 v28, -1, v27
	v_fma_f32 v29, -v28, v27, v26
	v_cmp_ge_f32_e64 s[50:51], 0, v29
	v_add_u32_e32 v29, 1, v27
	v_cndmask_b32_e64 v28, v27, v28, s[50:51]
	v_fma_f32 v27, -v29, v27, v26
	v_cmp_lt_f32_e64 s[50:51], 0, v27
	v_cndmask_b32_e64 v27, v28, v29, s[50:51]
	v_mul_f32_e32 v28, 0x37800000, v27
	v_cndmask_b32_e32 v27, v27, v28, vcc
	v_cmp_class_f32_e32 vcc, v26, v23
	v_cndmask_b32_e32 v26, v27, v26, vcc
	v_cmp_nge_f32_e32 vcc, 1.0, v26
	v_add_f32_e32 v26, 1.0, v24
	v_cndmask_b32_e32 v24, v26, v24, vcc
	v_mul_hi_u32 v26, v25, s55
	v_lshrrev_b32_e32 v26, 15, v26
	v_mul_u32_u24_e32 v27, 0xadc8, v26
	v_sub_u32_e32 v25, v25, v27
	v_mul_lo_u32 v25, v25, s56
	v_mul_u32_u24_e32 v26, 0xd47, v26
	v_xor_b32_e32 v27, 0x7fffffff, v26
	v_cmp_lt_u32_e32 vcc, v25, v26
	v_sub_u32_e32 v26, 0, v26
	v_cndmask_b32_e32 v26, v26, v27, vcc
	v_add_u32_e32 v25, v26, v25
	v_mul_hi_u32 v27, v25, s55
	v_add_u32_e32 v26, -1, v25
	v_cvt_f32_u32_e32 v26, v26
	v_lshrrev_b32_e32 v27, 15, v27
	v_mul_u32_u24_e32 v28, 0xadc8, v27
	v_sub_u32_e32 v25, v25, v28
	v_mul_lo_u32 v25, v25, s56
	v_mul_u32_u24_e32 v27, 0xd47, v27
	v_xor_b32_e32 v28, 0x7fffffff, v27
	v_fma_f32 v26, v26, s57, 0
	v_cmp_lt_u32_e32 vcc, v25, v27
	v_sub_u32_e32 v27, 0, v27
	v_cndmask_b32_e32 v27, v27, v28, vcc
	v_add_u32_e32 v25, v27, v25
	v_add_u32_e32 v27, -1, v25
	v_cvt_f32_u32_e32 v27, v27
	v_fma_f32 v27, v27, s57, 0
	v_mul_f32_e32 v27, v27, v27
	v_fmac_f32_e32 v27, v26, v26
	v_cmp_gt_f32_e32 vcc, s58, v27
	v_mul_f32_e32 v26, 0x4f800000, v27
	v_cndmask_b32_e32 v26, v27, v26, vcc
	v_sqrt_f32_e32 v27, v26
	v_add_u32_e32 v28, -1, v27
	v_fma_f32 v29, -v28, v27, v26
	v_cmp_ge_f32_e64 s[50:51], 0, v29
	v_add_u32_e32 v29, 1, v27
	v_cndmask_b32_e64 v28, v27, v28, s[50:51]
	v_fma_f32 v27, -v29, v27, v26
	v_cmp_lt_f32_e64 s[50:51], 0, v27
	v_cndmask_b32_e64 v27, v28, v29, s[50:51]
	v_mul_f32_e32 v28, 0x37800000, v27
	v_cndmask_b32_e32 v27, v27, v28, vcc
	v_cmp_class_f32_e32 vcc, v26, v23
	v_cndmask_b32_e32 v26, v27, v26, vcc
	v_cmp_nge_f32_e32 vcc, 1.0, v26
	v_add_f32_e32 v26, 1.0, v24
	v_cndmask_b32_e32 v24, v26, v24, vcc
	s_cbranch_scc1 .LBB31_210
; %bb.211:
	v_mul_f32_e32 v23, 4.0, v24
	s_mov_b32 s54, 0x461c4000
	v_div_scale_f32 v24, s[50:51], s54, s54, v23
	v_div_scale_f32 v25, vcc, v23, s54, v23
	v_rcp_f32_e32 v26, v24
	v_fma_f32 v27, -v24, v26, 1.0
	v_fmac_f32_e32 v26, v27, v26
	v_mul_f32_e32 v27, v25, v26
	v_fma_f32 v28, -v24, v27, v25
	v_fmac_f32_e32 v27, v28, v26
	v_fma_f32 v24, -v24, v27, v25
	v_div_fmas_f32 v24, v24, v26, v27
	v_div_fixup_f32 v23, v24, s54, v23
.LBB31_212:
	s_or_b64 exec, exec, s[52:53]
	v_or_b32_e32 v25, 0x1700, v0
	v_cmp_gt_u32_e64 s[50:51], s80, v25
                                        ; implicit-def: $vgpr24
	s_and_saveexec_b64 s[54:55], s[50:51]
	s_cbranch_execz .LBB31_216
; %bb.213:
	v_add_u32_e32 v24, s33, v25
	v_lshlrev_b32_e32 v25, 12, v24
	s_mov_b32 s52, 0x7ed55d16
	v_add3_u32 v24, v24, v25, s52
	v_lshrrev_b32_e32 v25, 19, v24
	v_xor_b32_e32 v24, v24, v25
	v_xor_b32_e32 v24, 0xc761c23c, v24
	v_lshl_add_u32 v24, v24, 5, v24
	v_mov_b32_e32 v26, 0xaccf6200
	v_add_u32_e32 v25, 0xe9f8cc1d, v24
	v_lshl_add_u32 v24, v24, 9, v26
	v_xor_b32_e32 v24, v25, v24
	v_lshlrev_b32_e32 v25, 3, v24
	s_mov_b32 s52, 0xfd7046c5
	v_add3_u32 v24, v24, v25, s52
	v_xor_b32_sdwa v24, v24, v24 dst_sel:DWORD dst_unused:UNUSED_PAD src0_sel:DWORD src1_sel:WORD_1
	v_xor_b32_e32 v24, 0xb55a4f09, v24
	v_mul_hi_u32 v25, v24, 3
	s_brev_b32 s52, -2
	s_movk_i32 s56, 0x2710
	s_mov_b32 s57, 0xbc8f1391
	v_sub_u32_e32 v26, v24, v25
	v_lshrrev_b32_e32 v26, 1, v26
	v_add_u32_e32 v25, v26, v25
	v_lshrrev_b32_e32 v25, 30, v25
	v_mul_lo_u32 v26, v25, s52
	v_mov_b32_e32 v25, 0
	s_mov_b32 s58, 0xbc8f
	s_brev_b32 s59, 12
	v_sub_u32_e32 v24, v24, v26
	v_max_u32_e32 v26, 1, v24
	s_mov_b32 s60, 0xf800000
	v_mov_b32_e32 v24, 0x260
.LBB31_214:                             ; =>This Inner Loop Header: Depth=1
	v_mul_hi_u32 v27, v26, s57
	s_add_i32 s56, s56, -2
	s_cmp_lg_u32 s56, 0
	v_lshrrev_b32_e32 v27, 15, v27
	v_mul_u32_u24_e32 v28, 0xadc8, v27
	v_sub_u32_e32 v26, v26, v28
	v_mul_lo_u32 v26, v26, s58
	v_mul_u32_u24_e32 v27, 0xd47, v27
	v_xor_b32_e32 v28, 0x7fffffff, v27
	v_cmp_lt_u32_e32 vcc, v26, v27
	v_sub_u32_e32 v27, 0, v27
	v_cndmask_b32_e32 v27, v27, v28, vcc
	v_add_u32_e32 v26, v27, v26
	v_mul_hi_u32 v28, v26, s57
	v_add_u32_e32 v27, -1, v26
	v_cvt_f32_u32_e32 v27, v27
	v_lshrrev_b32_e32 v28, 15, v28
	v_mul_u32_u24_e32 v29, 0xadc8, v28
	v_sub_u32_e32 v26, v26, v29
	v_mul_lo_u32 v26, v26, s58
	v_mul_u32_u24_e32 v28, 0xd47, v28
	v_xor_b32_e32 v29, 0x7fffffff, v28
	v_fma_f32 v27, v27, s59, 0
	v_cmp_lt_u32_e32 vcc, v26, v28
	v_sub_u32_e32 v28, 0, v28
	v_cndmask_b32_e32 v28, v28, v29, vcc
	v_add_u32_e32 v26, v28, v26
	v_add_u32_e32 v28, -1, v26
	v_cvt_f32_u32_e32 v28, v28
	v_fma_f32 v28, v28, s59, 0
	v_mul_f32_e32 v28, v28, v28
	v_fmac_f32_e32 v28, v27, v27
	v_cmp_gt_f32_e32 vcc, s60, v28
	v_mul_f32_e32 v27, 0x4f800000, v28
	v_cndmask_b32_e32 v27, v28, v27, vcc
	v_sqrt_f32_e32 v28, v27
	v_add_u32_e32 v29, -1, v28
	v_fma_f32 v30, -v29, v28, v27
	v_cmp_ge_f32_e64 s[52:53], 0, v30
	v_add_u32_e32 v30, 1, v28
	v_cndmask_b32_e64 v29, v28, v29, s[52:53]
	v_fma_f32 v28, -v30, v28, v27
	v_cmp_lt_f32_e64 s[52:53], 0, v28
	v_cndmask_b32_e64 v28, v29, v30, s[52:53]
	v_mul_f32_e32 v29, 0x37800000, v28
	v_cndmask_b32_e32 v28, v28, v29, vcc
	v_cmp_class_f32_e32 vcc, v27, v24
	v_cndmask_b32_e32 v27, v28, v27, vcc
	v_cmp_nge_f32_e32 vcc, 1.0, v27
	v_add_f32_e32 v27, 1.0, v25
	v_cndmask_b32_e32 v25, v27, v25, vcc
	v_mul_hi_u32 v27, v26, s57
	v_lshrrev_b32_e32 v27, 15, v27
	v_mul_u32_u24_e32 v28, 0xadc8, v27
	v_sub_u32_e32 v26, v26, v28
	v_mul_lo_u32 v26, v26, s58
	v_mul_u32_u24_e32 v27, 0xd47, v27
	v_xor_b32_e32 v28, 0x7fffffff, v27
	v_cmp_lt_u32_e32 vcc, v26, v27
	v_sub_u32_e32 v27, 0, v27
	v_cndmask_b32_e32 v27, v27, v28, vcc
	v_add_u32_e32 v26, v27, v26
	v_mul_hi_u32 v28, v26, s57
	v_add_u32_e32 v27, -1, v26
	v_cvt_f32_u32_e32 v27, v27
	v_lshrrev_b32_e32 v28, 15, v28
	v_mul_u32_u24_e32 v29, 0xadc8, v28
	v_sub_u32_e32 v26, v26, v29
	v_mul_lo_u32 v26, v26, s58
	v_mul_u32_u24_e32 v28, 0xd47, v28
	v_xor_b32_e32 v29, 0x7fffffff, v28
	v_fma_f32 v27, v27, s59, 0
	v_cmp_lt_u32_e32 vcc, v26, v28
	v_sub_u32_e32 v28, 0, v28
	v_cndmask_b32_e32 v28, v28, v29, vcc
	v_add_u32_e32 v26, v28, v26
	v_add_u32_e32 v28, -1, v26
	v_cvt_f32_u32_e32 v28, v28
	v_fma_f32 v28, v28, s59, 0
	v_mul_f32_e32 v28, v28, v28
	v_fmac_f32_e32 v28, v27, v27
	v_cmp_gt_f32_e32 vcc, s60, v28
	v_mul_f32_e32 v27, 0x4f800000, v28
	v_cndmask_b32_e32 v27, v28, v27, vcc
	v_sqrt_f32_e32 v28, v27
	v_add_u32_e32 v29, -1, v28
	v_fma_f32 v30, -v29, v28, v27
	v_cmp_ge_f32_e64 s[52:53], 0, v30
	v_add_u32_e32 v30, 1, v28
	v_cndmask_b32_e64 v29, v28, v29, s[52:53]
	v_fma_f32 v28, -v30, v28, v27
	v_cmp_lt_f32_e64 s[52:53], 0, v28
	v_cndmask_b32_e64 v28, v29, v30, s[52:53]
	v_mul_f32_e32 v29, 0x37800000, v28
	v_cndmask_b32_e32 v28, v28, v29, vcc
	v_cmp_class_f32_e32 vcc, v27, v24
	v_cndmask_b32_e32 v27, v28, v27, vcc
	v_cmp_nge_f32_e32 vcc, 1.0, v27
	v_add_f32_e32 v27, 1.0, v25
	v_cndmask_b32_e32 v25, v27, v25, vcc
	s_cbranch_scc1 .LBB31_214
; %bb.215:
	v_mul_f32_e32 v24, 4.0, v25
	s_mov_b32 s56, 0x461c4000
	v_div_scale_f32 v25, s[52:53], s56, s56, v24
	v_div_scale_f32 v26, vcc, v24, s56, v24
	v_rcp_f32_e32 v27, v25
	v_fma_f32 v28, -v25, v27, 1.0
	v_fmac_f32_e32 v27, v28, v27
	v_mul_f32_e32 v28, v26, v27
	v_fma_f32 v29, -v25, v28, v26
	v_fmac_f32_e32 v28, v29, v27
	v_fma_f32 v25, -v25, v28, v26
	v_div_fmas_f32 v25, v25, v27, v28
	v_div_fixup_f32 v24, v25, s56, v24
.LBB31_216:
	s_or_b64 exec, exec, s[54:55]
	v_or_b32_e32 v26, 0x1800, v0
	v_cmp_gt_u32_e64 s[52:53], s80, v26
                                        ; implicit-def: $vgpr25
	s_and_saveexec_b64 s[56:57], s[52:53]
	s_cbranch_execz .LBB31_220
; %bb.217:
	v_add_u32_e32 v25, s33, v26
	v_lshlrev_b32_e32 v26, 12, v25
	s_mov_b32 s54, 0x7ed55d16
	v_add3_u32 v25, v25, v26, s54
	v_lshrrev_b32_e32 v26, 19, v25
	v_xor_b32_e32 v25, v25, v26
	v_xor_b32_e32 v25, 0xc761c23c, v25
	v_lshl_add_u32 v25, v25, 5, v25
	v_mov_b32_e32 v27, 0xaccf6200
	v_add_u32_e32 v26, 0xe9f8cc1d, v25
	v_lshl_add_u32 v25, v25, 9, v27
	v_xor_b32_e32 v25, v26, v25
	v_lshlrev_b32_e32 v26, 3, v25
	s_mov_b32 s54, 0xfd7046c5
	v_add3_u32 v25, v25, v26, s54
	v_xor_b32_sdwa v25, v25, v25 dst_sel:DWORD dst_unused:UNUSED_PAD src0_sel:DWORD src1_sel:WORD_1
	v_xor_b32_e32 v25, 0xb55a4f09, v25
	v_mul_hi_u32 v26, v25, 3
	s_brev_b32 s54, -2
	s_movk_i32 s58, 0x2710
	s_mov_b32 s59, 0xbc8f1391
	v_sub_u32_e32 v27, v25, v26
	v_lshrrev_b32_e32 v27, 1, v27
	v_add_u32_e32 v26, v27, v26
	v_lshrrev_b32_e32 v26, 30, v26
	v_mul_lo_u32 v27, v26, s54
	v_mov_b32_e32 v26, 0
	s_mov_b32 s60, 0xbc8f
	s_brev_b32 s61, 12
	v_sub_u32_e32 v25, v25, v27
	v_max_u32_e32 v27, 1, v25
	s_mov_b32 s62, 0xf800000
	v_mov_b32_e32 v25, 0x260
.LBB31_218:                             ; =>This Inner Loop Header: Depth=1
	v_mul_hi_u32 v28, v27, s59
	s_add_i32 s58, s58, -2
	s_cmp_lg_u32 s58, 0
	v_lshrrev_b32_e32 v28, 15, v28
	v_mul_u32_u24_e32 v29, 0xadc8, v28
	v_sub_u32_e32 v27, v27, v29
	v_mul_lo_u32 v27, v27, s60
	v_mul_u32_u24_e32 v28, 0xd47, v28
	v_xor_b32_e32 v29, 0x7fffffff, v28
	v_cmp_lt_u32_e32 vcc, v27, v28
	v_sub_u32_e32 v28, 0, v28
	v_cndmask_b32_e32 v28, v28, v29, vcc
	v_add_u32_e32 v27, v28, v27
	v_mul_hi_u32 v29, v27, s59
	v_add_u32_e32 v28, -1, v27
	v_cvt_f32_u32_e32 v28, v28
	v_lshrrev_b32_e32 v29, 15, v29
	v_mul_u32_u24_e32 v30, 0xadc8, v29
	v_sub_u32_e32 v27, v27, v30
	v_mul_lo_u32 v27, v27, s60
	v_mul_u32_u24_e32 v29, 0xd47, v29
	v_xor_b32_e32 v30, 0x7fffffff, v29
	v_fma_f32 v28, v28, s61, 0
	v_cmp_lt_u32_e32 vcc, v27, v29
	v_sub_u32_e32 v29, 0, v29
	v_cndmask_b32_e32 v29, v29, v30, vcc
	v_add_u32_e32 v27, v29, v27
	v_add_u32_e32 v29, -1, v27
	v_cvt_f32_u32_e32 v29, v29
	v_fma_f32 v29, v29, s61, 0
	v_mul_f32_e32 v29, v29, v29
	v_fmac_f32_e32 v29, v28, v28
	v_cmp_gt_f32_e32 vcc, s62, v29
	v_mul_f32_e32 v28, 0x4f800000, v29
	v_cndmask_b32_e32 v28, v29, v28, vcc
	v_sqrt_f32_e32 v29, v28
	v_add_u32_e32 v30, -1, v29
	v_fma_f32 v31, -v30, v29, v28
	v_cmp_ge_f32_e64 s[54:55], 0, v31
	v_add_u32_e32 v31, 1, v29
	v_cndmask_b32_e64 v30, v29, v30, s[54:55]
	v_fma_f32 v29, -v31, v29, v28
	v_cmp_lt_f32_e64 s[54:55], 0, v29
	v_cndmask_b32_e64 v29, v30, v31, s[54:55]
	v_mul_f32_e32 v30, 0x37800000, v29
	v_cndmask_b32_e32 v29, v29, v30, vcc
	v_cmp_class_f32_e32 vcc, v28, v25
	v_cndmask_b32_e32 v28, v29, v28, vcc
	v_cmp_nge_f32_e32 vcc, 1.0, v28
	v_add_f32_e32 v28, 1.0, v26
	v_cndmask_b32_e32 v26, v28, v26, vcc
	v_mul_hi_u32 v28, v27, s59
	v_lshrrev_b32_e32 v28, 15, v28
	v_mul_u32_u24_e32 v29, 0xadc8, v28
	v_sub_u32_e32 v27, v27, v29
	v_mul_lo_u32 v27, v27, s60
	v_mul_u32_u24_e32 v28, 0xd47, v28
	v_xor_b32_e32 v29, 0x7fffffff, v28
	v_cmp_lt_u32_e32 vcc, v27, v28
	v_sub_u32_e32 v28, 0, v28
	v_cndmask_b32_e32 v28, v28, v29, vcc
	v_add_u32_e32 v27, v28, v27
	v_mul_hi_u32 v29, v27, s59
	v_add_u32_e32 v28, -1, v27
	v_cvt_f32_u32_e32 v28, v28
	v_lshrrev_b32_e32 v29, 15, v29
	v_mul_u32_u24_e32 v30, 0xadc8, v29
	v_sub_u32_e32 v27, v27, v30
	v_mul_lo_u32 v27, v27, s60
	v_mul_u32_u24_e32 v29, 0xd47, v29
	v_xor_b32_e32 v30, 0x7fffffff, v29
	v_fma_f32 v28, v28, s61, 0
	v_cmp_lt_u32_e32 vcc, v27, v29
	v_sub_u32_e32 v29, 0, v29
	v_cndmask_b32_e32 v29, v29, v30, vcc
	v_add_u32_e32 v27, v29, v27
	v_add_u32_e32 v29, -1, v27
	v_cvt_f32_u32_e32 v29, v29
	v_fma_f32 v29, v29, s61, 0
	v_mul_f32_e32 v29, v29, v29
	v_fmac_f32_e32 v29, v28, v28
	v_cmp_gt_f32_e32 vcc, s62, v29
	v_mul_f32_e32 v28, 0x4f800000, v29
	v_cndmask_b32_e32 v28, v29, v28, vcc
	v_sqrt_f32_e32 v29, v28
	v_add_u32_e32 v30, -1, v29
	v_fma_f32 v31, -v30, v29, v28
	v_cmp_ge_f32_e64 s[54:55], 0, v31
	v_add_u32_e32 v31, 1, v29
	v_cndmask_b32_e64 v30, v29, v30, s[54:55]
	v_fma_f32 v29, -v31, v29, v28
	v_cmp_lt_f32_e64 s[54:55], 0, v29
	v_cndmask_b32_e64 v29, v30, v31, s[54:55]
	v_mul_f32_e32 v30, 0x37800000, v29
	v_cndmask_b32_e32 v29, v29, v30, vcc
	v_cmp_class_f32_e32 vcc, v28, v25
	v_cndmask_b32_e32 v28, v29, v28, vcc
	v_cmp_nge_f32_e32 vcc, 1.0, v28
	v_add_f32_e32 v28, 1.0, v26
	v_cndmask_b32_e32 v26, v28, v26, vcc
	s_cbranch_scc1 .LBB31_218
; %bb.219:
	v_mul_f32_e32 v25, 4.0, v26
	s_mov_b32 s58, 0x461c4000
	v_div_scale_f32 v26, s[54:55], s58, s58, v25
	v_div_scale_f32 v27, vcc, v25, s58, v25
	v_rcp_f32_e32 v28, v26
	v_fma_f32 v29, -v26, v28, 1.0
	v_fmac_f32_e32 v28, v29, v28
	v_mul_f32_e32 v29, v27, v28
	v_fma_f32 v30, -v26, v29, v27
	v_fmac_f32_e32 v29, v30, v28
	v_fma_f32 v26, -v26, v29, v27
	v_div_fmas_f32 v26, v26, v28, v29
	v_div_fixup_f32 v25, v26, s58, v25
.LBB31_220:
	s_or_b64 exec, exec, s[56:57]
	v_or_b32_e32 v27, 0x1900, v0
	v_cmp_gt_u32_e64 s[54:55], s80, v27
                                        ; implicit-def: $vgpr26
	s_and_saveexec_b64 s[58:59], s[54:55]
	s_cbranch_execz .LBB31_224
; %bb.221:
	v_add_u32_e32 v26, s33, v27
	v_lshlrev_b32_e32 v27, 12, v26
	s_mov_b32 s56, 0x7ed55d16
	v_add3_u32 v26, v26, v27, s56
	v_lshrrev_b32_e32 v27, 19, v26
	v_xor_b32_e32 v26, v26, v27
	v_xor_b32_e32 v26, 0xc761c23c, v26
	v_lshl_add_u32 v26, v26, 5, v26
	v_mov_b32_e32 v28, 0xaccf6200
	v_add_u32_e32 v27, 0xe9f8cc1d, v26
	v_lshl_add_u32 v26, v26, 9, v28
	v_xor_b32_e32 v26, v27, v26
	v_lshlrev_b32_e32 v27, 3, v26
	s_mov_b32 s56, 0xfd7046c5
	v_add3_u32 v26, v26, v27, s56
	v_xor_b32_sdwa v26, v26, v26 dst_sel:DWORD dst_unused:UNUSED_PAD src0_sel:DWORD src1_sel:WORD_1
	v_xor_b32_e32 v26, 0xb55a4f09, v26
	v_mul_hi_u32 v27, v26, 3
	s_brev_b32 s56, -2
	s_movk_i32 s60, 0x2710
	s_mov_b32 s61, 0xbc8f1391
	v_sub_u32_e32 v28, v26, v27
	v_lshrrev_b32_e32 v28, 1, v28
	v_add_u32_e32 v27, v28, v27
	v_lshrrev_b32_e32 v27, 30, v27
	v_mul_lo_u32 v28, v27, s56
	v_mov_b32_e32 v27, 0
	s_mov_b32 s62, 0xbc8f
	s_brev_b32 s63, 12
	v_sub_u32_e32 v26, v26, v28
	v_max_u32_e32 v28, 1, v26
	s_mov_b32 s64, 0xf800000
	v_mov_b32_e32 v26, 0x260
.LBB31_222:                             ; =>This Inner Loop Header: Depth=1
	v_mul_hi_u32 v29, v28, s61
	s_add_i32 s60, s60, -2
	s_cmp_lg_u32 s60, 0
	v_lshrrev_b32_e32 v29, 15, v29
	v_mul_u32_u24_e32 v30, 0xadc8, v29
	v_sub_u32_e32 v28, v28, v30
	v_mul_lo_u32 v28, v28, s62
	v_mul_u32_u24_e32 v29, 0xd47, v29
	v_xor_b32_e32 v30, 0x7fffffff, v29
	v_cmp_lt_u32_e32 vcc, v28, v29
	v_sub_u32_e32 v29, 0, v29
	v_cndmask_b32_e32 v29, v29, v30, vcc
	v_add_u32_e32 v28, v29, v28
	v_mul_hi_u32 v30, v28, s61
	v_add_u32_e32 v29, -1, v28
	v_cvt_f32_u32_e32 v29, v29
	v_lshrrev_b32_e32 v30, 15, v30
	v_mul_u32_u24_e32 v31, 0xadc8, v30
	v_sub_u32_e32 v28, v28, v31
	v_mul_lo_u32 v28, v28, s62
	v_mul_u32_u24_e32 v30, 0xd47, v30
	v_xor_b32_e32 v31, 0x7fffffff, v30
	v_fma_f32 v29, v29, s63, 0
	v_cmp_lt_u32_e32 vcc, v28, v30
	v_sub_u32_e32 v30, 0, v30
	v_cndmask_b32_e32 v30, v30, v31, vcc
	v_add_u32_e32 v28, v30, v28
	v_add_u32_e32 v30, -1, v28
	v_cvt_f32_u32_e32 v30, v30
	v_fma_f32 v30, v30, s63, 0
	v_mul_f32_e32 v30, v30, v30
	v_fmac_f32_e32 v30, v29, v29
	v_cmp_gt_f32_e32 vcc, s64, v30
	v_mul_f32_e32 v29, 0x4f800000, v30
	v_cndmask_b32_e32 v29, v30, v29, vcc
	v_sqrt_f32_e32 v30, v29
	v_add_u32_e32 v31, -1, v30
	v_fma_f32 v32, -v31, v30, v29
	v_cmp_ge_f32_e64 s[56:57], 0, v32
	v_add_u32_e32 v32, 1, v30
	v_cndmask_b32_e64 v31, v30, v31, s[56:57]
	v_fma_f32 v30, -v32, v30, v29
	v_cmp_lt_f32_e64 s[56:57], 0, v30
	v_cndmask_b32_e64 v30, v31, v32, s[56:57]
	v_mul_f32_e32 v31, 0x37800000, v30
	v_cndmask_b32_e32 v30, v30, v31, vcc
	v_cmp_class_f32_e32 vcc, v29, v26
	v_cndmask_b32_e32 v29, v30, v29, vcc
	v_cmp_nge_f32_e32 vcc, 1.0, v29
	v_add_f32_e32 v29, 1.0, v27
	v_cndmask_b32_e32 v27, v29, v27, vcc
	v_mul_hi_u32 v29, v28, s61
	v_lshrrev_b32_e32 v29, 15, v29
	v_mul_u32_u24_e32 v30, 0xadc8, v29
	v_sub_u32_e32 v28, v28, v30
	v_mul_lo_u32 v28, v28, s62
	v_mul_u32_u24_e32 v29, 0xd47, v29
	v_xor_b32_e32 v30, 0x7fffffff, v29
	v_cmp_lt_u32_e32 vcc, v28, v29
	v_sub_u32_e32 v29, 0, v29
	v_cndmask_b32_e32 v29, v29, v30, vcc
	v_add_u32_e32 v28, v29, v28
	v_mul_hi_u32 v30, v28, s61
	v_add_u32_e32 v29, -1, v28
	v_cvt_f32_u32_e32 v29, v29
	v_lshrrev_b32_e32 v30, 15, v30
	v_mul_u32_u24_e32 v31, 0xadc8, v30
	v_sub_u32_e32 v28, v28, v31
	v_mul_lo_u32 v28, v28, s62
	v_mul_u32_u24_e32 v30, 0xd47, v30
	v_xor_b32_e32 v31, 0x7fffffff, v30
	v_fma_f32 v29, v29, s63, 0
	v_cmp_lt_u32_e32 vcc, v28, v30
	v_sub_u32_e32 v30, 0, v30
	v_cndmask_b32_e32 v30, v30, v31, vcc
	v_add_u32_e32 v28, v30, v28
	v_add_u32_e32 v30, -1, v28
	v_cvt_f32_u32_e32 v30, v30
	v_fma_f32 v30, v30, s63, 0
	v_mul_f32_e32 v30, v30, v30
	v_fmac_f32_e32 v30, v29, v29
	v_cmp_gt_f32_e32 vcc, s64, v30
	v_mul_f32_e32 v29, 0x4f800000, v30
	v_cndmask_b32_e32 v29, v30, v29, vcc
	v_sqrt_f32_e32 v30, v29
	v_add_u32_e32 v31, -1, v30
	v_fma_f32 v32, -v31, v30, v29
	v_cmp_ge_f32_e64 s[56:57], 0, v32
	v_add_u32_e32 v32, 1, v30
	v_cndmask_b32_e64 v31, v30, v31, s[56:57]
	v_fma_f32 v30, -v32, v30, v29
	v_cmp_lt_f32_e64 s[56:57], 0, v30
	v_cndmask_b32_e64 v30, v31, v32, s[56:57]
	v_mul_f32_e32 v31, 0x37800000, v30
	v_cndmask_b32_e32 v30, v30, v31, vcc
	v_cmp_class_f32_e32 vcc, v29, v26
	v_cndmask_b32_e32 v29, v30, v29, vcc
	v_cmp_nge_f32_e32 vcc, 1.0, v29
	v_add_f32_e32 v29, 1.0, v27
	v_cndmask_b32_e32 v27, v29, v27, vcc
	s_cbranch_scc1 .LBB31_222
; %bb.223:
	v_mul_f32_e32 v26, 4.0, v27
	s_mov_b32 s60, 0x461c4000
	v_div_scale_f32 v27, s[56:57], s60, s60, v26
	v_div_scale_f32 v28, vcc, v26, s60, v26
	v_rcp_f32_e32 v29, v27
	v_fma_f32 v30, -v27, v29, 1.0
	v_fmac_f32_e32 v29, v30, v29
	v_mul_f32_e32 v30, v28, v29
	v_fma_f32 v31, -v27, v30, v28
	v_fmac_f32_e32 v30, v31, v29
	v_fma_f32 v27, -v27, v30, v28
	v_div_fmas_f32 v27, v27, v29, v30
	v_div_fixup_f32 v26, v27, s60, v26
.LBB31_224:
	s_or_b64 exec, exec, s[58:59]
	v_or_b32_e32 v28, 0x1a00, v0
	v_cmp_gt_u32_e64 s[56:57], s80, v28
                                        ; implicit-def: $vgpr27
	s_and_saveexec_b64 s[60:61], s[56:57]
	s_cbranch_execz .LBB31_228
; %bb.225:
	v_add_u32_e32 v27, s33, v28
	v_lshlrev_b32_e32 v28, 12, v27
	s_mov_b32 s58, 0x7ed55d16
	v_add3_u32 v27, v27, v28, s58
	v_lshrrev_b32_e32 v28, 19, v27
	v_xor_b32_e32 v27, v27, v28
	v_xor_b32_e32 v27, 0xc761c23c, v27
	v_lshl_add_u32 v27, v27, 5, v27
	v_mov_b32_e32 v29, 0xaccf6200
	v_add_u32_e32 v28, 0xe9f8cc1d, v27
	v_lshl_add_u32 v27, v27, 9, v29
	v_xor_b32_e32 v27, v28, v27
	v_lshlrev_b32_e32 v28, 3, v27
	s_mov_b32 s58, 0xfd7046c5
	v_add3_u32 v27, v27, v28, s58
	v_xor_b32_sdwa v27, v27, v27 dst_sel:DWORD dst_unused:UNUSED_PAD src0_sel:DWORD src1_sel:WORD_1
	v_xor_b32_e32 v27, 0xb55a4f09, v27
	v_mul_hi_u32 v28, v27, 3
	s_brev_b32 s58, -2
	s_movk_i32 s62, 0x2710
	s_mov_b32 s63, 0xbc8f1391
	v_sub_u32_e32 v29, v27, v28
	v_lshrrev_b32_e32 v29, 1, v29
	v_add_u32_e32 v28, v29, v28
	v_lshrrev_b32_e32 v28, 30, v28
	v_mul_lo_u32 v29, v28, s58
	v_mov_b32_e32 v28, 0
	s_mov_b32 s64, 0xbc8f
	s_brev_b32 s65, 12
	v_sub_u32_e32 v27, v27, v29
	v_max_u32_e32 v29, 1, v27
	s_mov_b32 s66, 0xf800000
	v_mov_b32_e32 v27, 0x260
.LBB31_226:                             ; =>This Inner Loop Header: Depth=1
	v_mul_hi_u32 v30, v29, s63
	s_add_i32 s62, s62, -2
	s_cmp_lg_u32 s62, 0
	v_lshrrev_b32_e32 v30, 15, v30
	v_mul_u32_u24_e32 v31, 0xadc8, v30
	v_sub_u32_e32 v29, v29, v31
	v_mul_lo_u32 v29, v29, s64
	v_mul_u32_u24_e32 v30, 0xd47, v30
	v_xor_b32_e32 v31, 0x7fffffff, v30
	v_cmp_lt_u32_e32 vcc, v29, v30
	v_sub_u32_e32 v30, 0, v30
	v_cndmask_b32_e32 v30, v30, v31, vcc
	v_add_u32_e32 v29, v30, v29
	v_mul_hi_u32 v31, v29, s63
	v_add_u32_e32 v30, -1, v29
	v_cvt_f32_u32_e32 v30, v30
	v_lshrrev_b32_e32 v31, 15, v31
	v_mul_u32_u24_e32 v32, 0xadc8, v31
	v_sub_u32_e32 v29, v29, v32
	v_mul_lo_u32 v29, v29, s64
	v_mul_u32_u24_e32 v31, 0xd47, v31
	v_xor_b32_e32 v32, 0x7fffffff, v31
	v_fma_f32 v30, v30, s65, 0
	v_cmp_lt_u32_e32 vcc, v29, v31
	v_sub_u32_e32 v31, 0, v31
	v_cndmask_b32_e32 v31, v31, v32, vcc
	v_add_u32_e32 v29, v31, v29
	v_add_u32_e32 v31, -1, v29
	v_cvt_f32_u32_e32 v31, v31
	v_fma_f32 v31, v31, s65, 0
	v_mul_f32_e32 v31, v31, v31
	v_fmac_f32_e32 v31, v30, v30
	v_cmp_gt_f32_e32 vcc, s66, v31
	v_mul_f32_e32 v30, 0x4f800000, v31
	v_cndmask_b32_e32 v30, v31, v30, vcc
	v_sqrt_f32_e32 v31, v30
	v_add_u32_e32 v32, -1, v31
	v_fma_f32 v33, -v32, v31, v30
	v_cmp_ge_f32_e64 s[58:59], 0, v33
	v_add_u32_e32 v33, 1, v31
	v_cndmask_b32_e64 v32, v31, v32, s[58:59]
	v_fma_f32 v31, -v33, v31, v30
	v_cmp_lt_f32_e64 s[58:59], 0, v31
	v_cndmask_b32_e64 v31, v32, v33, s[58:59]
	v_mul_f32_e32 v32, 0x37800000, v31
	v_cndmask_b32_e32 v31, v31, v32, vcc
	v_cmp_class_f32_e32 vcc, v30, v27
	v_cndmask_b32_e32 v30, v31, v30, vcc
	v_cmp_nge_f32_e32 vcc, 1.0, v30
	v_add_f32_e32 v30, 1.0, v28
	v_cndmask_b32_e32 v28, v30, v28, vcc
	v_mul_hi_u32 v30, v29, s63
	v_lshrrev_b32_e32 v30, 15, v30
	v_mul_u32_u24_e32 v31, 0xadc8, v30
	v_sub_u32_e32 v29, v29, v31
	v_mul_lo_u32 v29, v29, s64
	v_mul_u32_u24_e32 v30, 0xd47, v30
	v_xor_b32_e32 v31, 0x7fffffff, v30
	v_cmp_lt_u32_e32 vcc, v29, v30
	v_sub_u32_e32 v30, 0, v30
	v_cndmask_b32_e32 v30, v30, v31, vcc
	v_add_u32_e32 v29, v30, v29
	v_mul_hi_u32 v31, v29, s63
	v_add_u32_e32 v30, -1, v29
	v_cvt_f32_u32_e32 v30, v30
	v_lshrrev_b32_e32 v31, 15, v31
	v_mul_u32_u24_e32 v32, 0xadc8, v31
	v_sub_u32_e32 v29, v29, v32
	v_mul_lo_u32 v29, v29, s64
	v_mul_u32_u24_e32 v31, 0xd47, v31
	v_xor_b32_e32 v32, 0x7fffffff, v31
	v_fma_f32 v30, v30, s65, 0
	v_cmp_lt_u32_e32 vcc, v29, v31
	v_sub_u32_e32 v31, 0, v31
	v_cndmask_b32_e32 v31, v31, v32, vcc
	v_add_u32_e32 v29, v31, v29
	v_add_u32_e32 v31, -1, v29
	v_cvt_f32_u32_e32 v31, v31
	v_fma_f32 v31, v31, s65, 0
	v_mul_f32_e32 v31, v31, v31
	v_fmac_f32_e32 v31, v30, v30
	v_cmp_gt_f32_e32 vcc, s66, v31
	v_mul_f32_e32 v30, 0x4f800000, v31
	v_cndmask_b32_e32 v30, v31, v30, vcc
	v_sqrt_f32_e32 v31, v30
	v_add_u32_e32 v32, -1, v31
	v_fma_f32 v33, -v32, v31, v30
	v_cmp_ge_f32_e64 s[58:59], 0, v33
	v_add_u32_e32 v33, 1, v31
	v_cndmask_b32_e64 v32, v31, v32, s[58:59]
	v_fma_f32 v31, -v33, v31, v30
	v_cmp_lt_f32_e64 s[58:59], 0, v31
	v_cndmask_b32_e64 v31, v32, v33, s[58:59]
	v_mul_f32_e32 v32, 0x37800000, v31
	v_cndmask_b32_e32 v31, v31, v32, vcc
	v_cmp_class_f32_e32 vcc, v30, v27
	v_cndmask_b32_e32 v30, v31, v30, vcc
	v_cmp_nge_f32_e32 vcc, 1.0, v30
	v_add_f32_e32 v30, 1.0, v28
	v_cndmask_b32_e32 v28, v30, v28, vcc
	s_cbranch_scc1 .LBB31_226
; %bb.227:
	v_mul_f32_e32 v27, 4.0, v28
	s_mov_b32 s62, 0x461c4000
	v_div_scale_f32 v28, s[58:59], s62, s62, v27
	v_div_scale_f32 v29, vcc, v27, s62, v27
	v_rcp_f32_e32 v30, v28
	v_fma_f32 v31, -v28, v30, 1.0
	v_fmac_f32_e32 v30, v31, v30
	v_mul_f32_e32 v31, v29, v30
	v_fma_f32 v32, -v28, v31, v29
	v_fmac_f32_e32 v31, v32, v30
	v_fma_f32 v28, -v28, v31, v29
	v_div_fmas_f32 v28, v28, v30, v31
	v_div_fixup_f32 v27, v28, s62, v27
.LBB31_228:
	s_or_b64 exec, exec, s[60:61]
	v_or_b32_e32 v29, 0x1b00, v0
	v_cmp_gt_u32_e64 s[58:59], s80, v29
                                        ; implicit-def: $vgpr28
	s_and_saveexec_b64 s[62:63], s[58:59]
	s_cbranch_execz .LBB31_232
; %bb.229:
	v_add_u32_e32 v28, s33, v29
	v_lshlrev_b32_e32 v29, 12, v28
	s_mov_b32 s60, 0x7ed55d16
	v_add3_u32 v28, v28, v29, s60
	v_lshrrev_b32_e32 v29, 19, v28
	v_xor_b32_e32 v28, v28, v29
	v_xor_b32_e32 v28, 0xc761c23c, v28
	v_lshl_add_u32 v28, v28, 5, v28
	v_mov_b32_e32 v30, 0xaccf6200
	v_add_u32_e32 v29, 0xe9f8cc1d, v28
	v_lshl_add_u32 v28, v28, 9, v30
	v_xor_b32_e32 v28, v29, v28
	v_lshlrev_b32_e32 v29, 3, v28
	s_mov_b32 s60, 0xfd7046c5
	v_add3_u32 v28, v28, v29, s60
	v_xor_b32_sdwa v28, v28, v28 dst_sel:DWORD dst_unused:UNUSED_PAD src0_sel:DWORD src1_sel:WORD_1
	v_xor_b32_e32 v28, 0xb55a4f09, v28
	v_mul_hi_u32 v29, v28, 3
	s_brev_b32 s60, -2
	s_movk_i32 s64, 0x2710
	s_mov_b32 s65, 0xbc8f1391
	v_sub_u32_e32 v30, v28, v29
	v_lshrrev_b32_e32 v30, 1, v30
	v_add_u32_e32 v29, v30, v29
	v_lshrrev_b32_e32 v29, 30, v29
	v_mul_lo_u32 v30, v29, s60
	v_mov_b32_e32 v29, 0
	s_mov_b32 s66, 0xbc8f
	s_brev_b32 s67, 12
	v_sub_u32_e32 v28, v28, v30
	v_max_u32_e32 v30, 1, v28
	s_mov_b32 s68, 0xf800000
	v_mov_b32_e32 v28, 0x260
.LBB31_230:                             ; =>This Inner Loop Header: Depth=1
	v_mul_hi_u32 v31, v30, s65
	s_add_i32 s64, s64, -2
	s_cmp_lg_u32 s64, 0
	v_lshrrev_b32_e32 v31, 15, v31
	v_mul_u32_u24_e32 v32, 0xadc8, v31
	v_sub_u32_e32 v30, v30, v32
	v_mul_lo_u32 v30, v30, s66
	v_mul_u32_u24_e32 v31, 0xd47, v31
	v_xor_b32_e32 v32, 0x7fffffff, v31
	v_cmp_lt_u32_e32 vcc, v30, v31
	v_sub_u32_e32 v31, 0, v31
	v_cndmask_b32_e32 v31, v31, v32, vcc
	v_add_u32_e32 v30, v31, v30
	v_mul_hi_u32 v32, v30, s65
	v_add_u32_e32 v31, -1, v30
	v_cvt_f32_u32_e32 v31, v31
	v_lshrrev_b32_e32 v32, 15, v32
	v_mul_u32_u24_e32 v33, 0xadc8, v32
	v_sub_u32_e32 v30, v30, v33
	v_mul_lo_u32 v30, v30, s66
	v_mul_u32_u24_e32 v32, 0xd47, v32
	v_xor_b32_e32 v33, 0x7fffffff, v32
	v_fma_f32 v31, v31, s67, 0
	v_cmp_lt_u32_e32 vcc, v30, v32
	v_sub_u32_e32 v32, 0, v32
	v_cndmask_b32_e32 v32, v32, v33, vcc
	v_add_u32_e32 v30, v32, v30
	v_add_u32_e32 v32, -1, v30
	v_cvt_f32_u32_e32 v32, v32
	v_fma_f32 v32, v32, s67, 0
	v_mul_f32_e32 v32, v32, v32
	v_fmac_f32_e32 v32, v31, v31
	v_cmp_gt_f32_e32 vcc, s68, v32
	v_mul_f32_e32 v31, 0x4f800000, v32
	v_cndmask_b32_e32 v31, v32, v31, vcc
	v_sqrt_f32_e32 v32, v31
	v_add_u32_e32 v33, -1, v32
	v_fma_f32 v34, -v33, v32, v31
	v_cmp_ge_f32_e64 s[60:61], 0, v34
	v_add_u32_e32 v34, 1, v32
	v_cndmask_b32_e64 v33, v32, v33, s[60:61]
	v_fma_f32 v32, -v34, v32, v31
	v_cmp_lt_f32_e64 s[60:61], 0, v32
	v_cndmask_b32_e64 v32, v33, v34, s[60:61]
	v_mul_f32_e32 v33, 0x37800000, v32
	v_cndmask_b32_e32 v32, v32, v33, vcc
	v_cmp_class_f32_e32 vcc, v31, v28
	v_cndmask_b32_e32 v31, v32, v31, vcc
	v_cmp_nge_f32_e32 vcc, 1.0, v31
	v_add_f32_e32 v31, 1.0, v29
	v_cndmask_b32_e32 v29, v31, v29, vcc
	v_mul_hi_u32 v31, v30, s65
	v_lshrrev_b32_e32 v31, 15, v31
	v_mul_u32_u24_e32 v32, 0xadc8, v31
	v_sub_u32_e32 v30, v30, v32
	v_mul_lo_u32 v30, v30, s66
	v_mul_u32_u24_e32 v31, 0xd47, v31
	v_xor_b32_e32 v32, 0x7fffffff, v31
	v_cmp_lt_u32_e32 vcc, v30, v31
	v_sub_u32_e32 v31, 0, v31
	v_cndmask_b32_e32 v31, v31, v32, vcc
	v_add_u32_e32 v30, v31, v30
	v_mul_hi_u32 v32, v30, s65
	v_add_u32_e32 v31, -1, v30
	v_cvt_f32_u32_e32 v31, v31
	v_lshrrev_b32_e32 v32, 15, v32
	v_mul_u32_u24_e32 v33, 0xadc8, v32
	v_sub_u32_e32 v30, v30, v33
	v_mul_lo_u32 v30, v30, s66
	v_mul_u32_u24_e32 v32, 0xd47, v32
	v_xor_b32_e32 v33, 0x7fffffff, v32
	v_fma_f32 v31, v31, s67, 0
	v_cmp_lt_u32_e32 vcc, v30, v32
	v_sub_u32_e32 v32, 0, v32
	v_cndmask_b32_e32 v32, v32, v33, vcc
	v_add_u32_e32 v30, v32, v30
	v_add_u32_e32 v32, -1, v30
	v_cvt_f32_u32_e32 v32, v32
	v_fma_f32 v32, v32, s67, 0
	v_mul_f32_e32 v32, v32, v32
	v_fmac_f32_e32 v32, v31, v31
	v_cmp_gt_f32_e32 vcc, s68, v32
	v_mul_f32_e32 v31, 0x4f800000, v32
	v_cndmask_b32_e32 v31, v32, v31, vcc
	v_sqrt_f32_e32 v32, v31
	v_add_u32_e32 v33, -1, v32
	v_fma_f32 v34, -v33, v32, v31
	v_cmp_ge_f32_e64 s[60:61], 0, v34
	v_add_u32_e32 v34, 1, v32
	v_cndmask_b32_e64 v33, v32, v33, s[60:61]
	v_fma_f32 v32, -v34, v32, v31
	v_cmp_lt_f32_e64 s[60:61], 0, v32
	v_cndmask_b32_e64 v32, v33, v34, s[60:61]
	v_mul_f32_e32 v33, 0x37800000, v32
	v_cndmask_b32_e32 v32, v32, v33, vcc
	v_cmp_class_f32_e32 vcc, v31, v28
	v_cndmask_b32_e32 v31, v32, v31, vcc
	v_cmp_nge_f32_e32 vcc, 1.0, v31
	v_add_f32_e32 v31, 1.0, v29
	v_cndmask_b32_e32 v29, v31, v29, vcc
	s_cbranch_scc1 .LBB31_230
; %bb.231:
	v_mul_f32_e32 v28, 4.0, v29
	s_mov_b32 s64, 0x461c4000
	v_div_scale_f32 v29, s[60:61], s64, s64, v28
	v_div_scale_f32 v30, vcc, v28, s64, v28
	v_rcp_f32_e32 v31, v29
	v_fma_f32 v32, -v29, v31, 1.0
	v_fmac_f32_e32 v31, v32, v31
	v_mul_f32_e32 v32, v30, v31
	v_fma_f32 v33, -v29, v32, v30
	v_fmac_f32_e32 v32, v33, v31
	v_fma_f32 v29, -v29, v32, v30
	v_div_fmas_f32 v29, v29, v31, v32
	v_div_fixup_f32 v28, v29, s64, v28
.LBB31_232:
	s_or_b64 exec, exec, s[62:63]
	v_or_b32_e32 v30, 0x1c00, v0
	v_cmp_gt_u32_e64 s[60:61], s80, v30
                                        ; implicit-def: $vgpr29
	s_and_saveexec_b64 s[64:65], s[60:61]
	s_cbranch_execz .LBB31_236
; %bb.233:
	v_add_u32_e32 v29, s33, v30
	v_lshlrev_b32_e32 v30, 12, v29
	s_mov_b32 s62, 0x7ed55d16
	v_add3_u32 v29, v29, v30, s62
	v_lshrrev_b32_e32 v30, 19, v29
	v_xor_b32_e32 v29, v29, v30
	v_xor_b32_e32 v29, 0xc761c23c, v29
	v_lshl_add_u32 v29, v29, 5, v29
	v_mov_b32_e32 v31, 0xaccf6200
	v_add_u32_e32 v30, 0xe9f8cc1d, v29
	v_lshl_add_u32 v29, v29, 9, v31
	v_xor_b32_e32 v29, v30, v29
	v_lshlrev_b32_e32 v30, 3, v29
	s_mov_b32 s62, 0xfd7046c5
	v_add3_u32 v29, v29, v30, s62
	v_xor_b32_sdwa v29, v29, v29 dst_sel:DWORD dst_unused:UNUSED_PAD src0_sel:DWORD src1_sel:WORD_1
	v_xor_b32_e32 v29, 0xb55a4f09, v29
	v_mul_hi_u32 v30, v29, 3
	s_brev_b32 s62, -2
	s_movk_i32 s66, 0x2710
	s_mov_b32 s67, 0xbc8f1391
	v_sub_u32_e32 v31, v29, v30
	v_lshrrev_b32_e32 v31, 1, v31
	v_add_u32_e32 v30, v31, v30
	v_lshrrev_b32_e32 v30, 30, v30
	v_mul_lo_u32 v31, v30, s62
	v_mov_b32_e32 v30, 0
	s_mov_b32 s68, 0xbc8f
	s_brev_b32 s69, 12
	v_sub_u32_e32 v29, v29, v31
	v_max_u32_e32 v31, 1, v29
	s_mov_b32 s78, 0xf800000
	v_mov_b32_e32 v29, 0x260
.LBB31_234:                             ; =>This Inner Loop Header: Depth=1
	v_mul_hi_u32 v32, v31, s67
	s_add_i32 s66, s66, -2
	s_cmp_lg_u32 s66, 0
	v_lshrrev_b32_e32 v32, 15, v32
	v_mul_u32_u24_e32 v33, 0xadc8, v32
	v_sub_u32_e32 v31, v31, v33
	v_mul_lo_u32 v31, v31, s68
	v_mul_u32_u24_e32 v32, 0xd47, v32
	v_xor_b32_e32 v33, 0x7fffffff, v32
	v_cmp_lt_u32_e32 vcc, v31, v32
	v_sub_u32_e32 v32, 0, v32
	v_cndmask_b32_e32 v32, v32, v33, vcc
	v_add_u32_e32 v31, v32, v31
	v_mul_hi_u32 v33, v31, s67
	v_add_u32_e32 v32, -1, v31
	v_cvt_f32_u32_e32 v32, v32
	v_lshrrev_b32_e32 v33, 15, v33
	v_mul_u32_u24_e32 v34, 0xadc8, v33
	v_sub_u32_e32 v31, v31, v34
	v_mul_lo_u32 v31, v31, s68
	v_mul_u32_u24_e32 v33, 0xd47, v33
	v_xor_b32_e32 v34, 0x7fffffff, v33
	v_fma_f32 v32, v32, s69, 0
	v_cmp_lt_u32_e32 vcc, v31, v33
	v_sub_u32_e32 v33, 0, v33
	v_cndmask_b32_e32 v33, v33, v34, vcc
	v_add_u32_e32 v31, v33, v31
	v_add_u32_e32 v33, -1, v31
	v_cvt_f32_u32_e32 v33, v33
	v_fma_f32 v33, v33, s69, 0
	v_mul_f32_e32 v33, v33, v33
	v_fmac_f32_e32 v33, v32, v32
	v_cmp_gt_f32_e32 vcc, s78, v33
	v_mul_f32_e32 v32, 0x4f800000, v33
	v_cndmask_b32_e32 v32, v33, v32, vcc
	v_sqrt_f32_e32 v33, v32
	v_add_u32_e32 v34, -1, v33
	v_fma_f32 v35, -v34, v33, v32
	v_cmp_ge_f32_e64 s[62:63], 0, v35
	v_add_u32_e32 v35, 1, v33
	v_cndmask_b32_e64 v34, v33, v34, s[62:63]
	v_fma_f32 v33, -v35, v33, v32
	v_cmp_lt_f32_e64 s[62:63], 0, v33
	v_cndmask_b32_e64 v33, v34, v35, s[62:63]
	v_mul_f32_e32 v34, 0x37800000, v33
	v_cndmask_b32_e32 v33, v33, v34, vcc
	v_cmp_class_f32_e32 vcc, v32, v29
	v_cndmask_b32_e32 v32, v33, v32, vcc
	v_cmp_nge_f32_e32 vcc, 1.0, v32
	v_add_f32_e32 v32, 1.0, v30
	v_cndmask_b32_e32 v30, v32, v30, vcc
	v_mul_hi_u32 v32, v31, s67
	v_lshrrev_b32_e32 v32, 15, v32
	v_mul_u32_u24_e32 v33, 0xadc8, v32
	v_sub_u32_e32 v31, v31, v33
	v_mul_lo_u32 v31, v31, s68
	v_mul_u32_u24_e32 v32, 0xd47, v32
	v_xor_b32_e32 v33, 0x7fffffff, v32
	v_cmp_lt_u32_e32 vcc, v31, v32
	v_sub_u32_e32 v32, 0, v32
	v_cndmask_b32_e32 v32, v32, v33, vcc
	v_add_u32_e32 v31, v32, v31
	v_mul_hi_u32 v33, v31, s67
	v_add_u32_e32 v32, -1, v31
	v_cvt_f32_u32_e32 v32, v32
	v_lshrrev_b32_e32 v33, 15, v33
	v_mul_u32_u24_e32 v34, 0xadc8, v33
	v_sub_u32_e32 v31, v31, v34
	v_mul_lo_u32 v31, v31, s68
	v_mul_u32_u24_e32 v33, 0xd47, v33
	v_xor_b32_e32 v34, 0x7fffffff, v33
	v_fma_f32 v32, v32, s69, 0
	v_cmp_lt_u32_e32 vcc, v31, v33
	v_sub_u32_e32 v33, 0, v33
	v_cndmask_b32_e32 v33, v33, v34, vcc
	v_add_u32_e32 v31, v33, v31
	v_add_u32_e32 v33, -1, v31
	v_cvt_f32_u32_e32 v33, v33
	v_fma_f32 v33, v33, s69, 0
	v_mul_f32_e32 v33, v33, v33
	v_fmac_f32_e32 v33, v32, v32
	v_cmp_gt_f32_e32 vcc, s78, v33
	v_mul_f32_e32 v32, 0x4f800000, v33
	v_cndmask_b32_e32 v32, v33, v32, vcc
	v_sqrt_f32_e32 v33, v32
	v_add_u32_e32 v34, -1, v33
	v_fma_f32 v35, -v34, v33, v32
	v_cmp_ge_f32_e64 s[62:63], 0, v35
	v_add_u32_e32 v35, 1, v33
	v_cndmask_b32_e64 v34, v33, v34, s[62:63]
	v_fma_f32 v33, -v35, v33, v32
	v_cmp_lt_f32_e64 s[62:63], 0, v33
	v_cndmask_b32_e64 v33, v34, v35, s[62:63]
	v_mul_f32_e32 v34, 0x37800000, v33
	v_cndmask_b32_e32 v33, v33, v34, vcc
	v_cmp_class_f32_e32 vcc, v32, v29
	v_cndmask_b32_e32 v32, v33, v32, vcc
	v_cmp_nge_f32_e32 vcc, 1.0, v32
	v_add_f32_e32 v32, 1.0, v30
	v_cndmask_b32_e32 v30, v32, v30, vcc
	s_cbranch_scc1 .LBB31_234
; %bb.235:
	v_mul_f32_e32 v29, 4.0, v30
	s_mov_b32 s66, 0x461c4000
	v_div_scale_f32 v30, s[62:63], s66, s66, v29
	v_div_scale_f32 v31, vcc, v29, s66, v29
	v_rcp_f32_e32 v32, v30
	v_fma_f32 v33, -v30, v32, 1.0
	v_fmac_f32_e32 v32, v33, v32
	v_mul_f32_e32 v33, v31, v32
	v_fma_f32 v34, -v30, v33, v31
	v_fmac_f32_e32 v33, v34, v32
	v_fma_f32 v30, -v30, v33, v31
	v_div_fmas_f32 v30, v30, v32, v33
	v_div_fixup_f32 v29, v30, s66, v29
.LBB31_236:
	s_or_b64 exec, exec, s[64:65]
	v_or_b32_e32 v31, 0x1d00, v0
	v_cmp_gt_u32_e64 s[62:63], s80, v31
                                        ; implicit-def: $vgpr30
	s_and_saveexec_b64 s[66:67], s[62:63]
	s_cbranch_execz .LBB31_240
; %bb.237:
	v_add_u32_e32 v30, s33, v31
	v_lshlrev_b32_e32 v31, 12, v30
	s_mov_b32 s64, 0x7ed55d16
	v_add3_u32 v30, v30, v31, s64
	v_lshrrev_b32_e32 v31, 19, v30
	v_xor_b32_e32 v30, v30, v31
	v_xor_b32_e32 v30, 0xc761c23c, v30
	v_lshl_add_u32 v30, v30, 5, v30
	v_mov_b32_e32 v32, 0xaccf6200
	v_add_u32_e32 v31, 0xe9f8cc1d, v30
	v_lshl_add_u32 v30, v30, 9, v32
	v_xor_b32_e32 v30, v31, v30
	v_lshlrev_b32_e32 v31, 3, v30
	s_mov_b32 s64, 0xfd7046c5
	v_add3_u32 v30, v30, v31, s64
	v_xor_b32_sdwa v30, v30, v30 dst_sel:DWORD dst_unused:UNUSED_PAD src0_sel:DWORD src1_sel:WORD_1
	v_xor_b32_e32 v30, 0xb55a4f09, v30
	v_mul_hi_u32 v31, v30, 3
	s_brev_b32 s64, -2
	s_movk_i32 s68, 0x2710
	s_mov_b32 s69, 0xbc8f1391
	v_sub_u32_e32 v32, v30, v31
	v_lshrrev_b32_e32 v32, 1, v32
	v_add_u32_e32 v31, v32, v31
	v_lshrrev_b32_e32 v31, 30, v31
	v_mul_lo_u32 v32, v31, s64
	v_mov_b32_e32 v31, 0
	s_mov_b32 s78, 0xbc8f
	s_brev_b32 s79, 12
	v_sub_u32_e32 v30, v30, v32
	v_max_u32_e32 v32, 1, v30
	s_mov_b32 s81, 0xf800000
	v_mov_b32_e32 v30, 0x260
.LBB31_238:                             ; =>This Inner Loop Header: Depth=1
	v_mul_hi_u32 v33, v32, s69
	s_add_i32 s68, s68, -2
	s_cmp_lg_u32 s68, 0
	v_lshrrev_b32_e32 v33, 15, v33
	v_mul_u32_u24_e32 v34, 0xadc8, v33
	v_sub_u32_e32 v32, v32, v34
	v_mul_lo_u32 v32, v32, s78
	v_mul_u32_u24_e32 v33, 0xd47, v33
	v_xor_b32_e32 v34, 0x7fffffff, v33
	v_cmp_lt_u32_e32 vcc, v32, v33
	v_sub_u32_e32 v33, 0, v33
	v_cndmask_b32_e32 v33, v33, v34, vcc
	v_add_u32_e32 v32, v33, v32
	v_mul_hi_u32 v34, v32, s69
	v_add_u32_e32 v33, -1, v32
	v_cvt_f32_u32_e32 v33, v33
	v_lshrrev_b32_e32 v34, 15, v34
	v_mul_u32_u24_e32 v35, 0xadc8, v34
	v_sub_u32_e32 v32, v32, v35
	v_mul_lo_u32 v32, v32, s78
	v_mul_u32_u24_e32 v34, 0xd47, v34
	v_xor_b32_e32 v35, 0x7fffffff, v34
	v_fma_f32 v33, v33, s79, 0
	v_cmp_lt_u32_e32 vcc, v32, v34
	v_sub_u32_e32 v34, 0, v34
	v_cndmask_b32_e32 v34, v34, v35, vcc
	v_add_u32_e32 v32, v34, v32
	v_add_u32_e32 v34, -1, v32
	v_cvt_f32_u32_e32 v34, v34
	v_fma_f32 v34, v34, s79, 0
	v_mul_f32_e32 v34, v34, v34
	v_fmac_f32_e32 v34, v33, v33
	v_cmp_gt_f32_e32 vcc, s81, v34
	v_mul_f32_e32 v33, 0x4f800000, v34
	v_cndmask_b32_e32 v33, v34, v33, vcc
	v_sqrt_f32_e32 v34, v33
	v_add_u32_e32 v35, -1, v34
	v_fma_f32 v36, -v35, v34, v33
	v_cmp_ge_f32_e64 s[64:65], 0, v36
	v_add_u32_e32 v36, 1, v34
	v_cndmask_b32_e64 v35, v34, v35, s[64:65]
	v_fma_f32 v34, -v36, v34, v33
	v_cmp_lt_f32_e64 s[64:65], 0, v34
	v_cndmask_b32_e64 v34, v35, v36, s[64:65]
	v_mul_f32_e32 v35, 0x37800000, v34
	v_cndmask_b32_e32 v34, v34, v35, vcc
	v_cmp_class_f32_e32 vcc, v33, v30
	v_cndmask_b32_e32 v33, v34, v33, vcc
	v_cmp_nge_f32_e32 vcc, 1.0, v33
	v_add_f32_e32 v33, 1.0, v31
	v_cndmask_b32_e32 v31, v33, v31, vcc
	v_mul_hi_u32 v33, v32, s69
	v_lshrrev_b32_e32 v33, 15, v33
	v_mul_u32_u24_e32 v34, 0xadc8, v33
	v_sub_u32_e32 v32, v32, v34
	v_mul_lo_u32 v32, v32, s78
	v_mul_u32_u24_e32 v33, 0xd47, v33
	v_xor_b32_e32 v34, 0x7fffffff, v33
	v_cmp_lt_u32_e32 vcc, v32, v33
	v_sub_u32_e32 v33, 0, v33
	v_cndmask_b32_e32 v33, v33, v34, vcc
	v_add_u32_e32 v32, v33, v32
	v_mul_hi_u32 v34, v32, s69
	v_add_u32_e32 v33, -1, v32
	v_cvt_f32_u32_e32 v33, v33
	v_lshrrev_b32_e32 v34, 15, v34
	v_mul_u32_u24_e32 v35, 0xadc8, v34
	v_sub_u32_e32 v32, v32, v35
	v_mul_lo_u32 v32, v32, s78
	v_mul_u32_u24_e32 v34, 0xd47, v34
	v_xor_b32_e32 v35, 0x7fffffff, v34
	v_fma_f32 v33, v33, s79, 0
	v_cmp_lt_u32_e32 vcc, v32, v34
	v_sub_u32_e32 v34, 0, v34
	v_cndmask_b32_e32 v34, v34, v35, vcc
	v_add_u32_e32 v32, v34, v32
	v_add_u32_e32 v34, -1, v32
	v_cvt_f32_u32_e32 v34, v34
	v_fma_f32 v34, v34, s79, 0
	v_mul_f32_e32 v34, v34, v34
	v_fmac_f32_e32 v34, v33, v33
	v_cmp_gt_f32_e32 vcc, s81, v34
	v_mul_f32_e32 v33, 0x4f800000, v34
	v_cndmask_b32_e32 v33, v34, v33, vcc
	v_sqrt_f32_e32 v34, v33
	v_add_u32_e32 v35, -1, v34
	v_fma_f32 v36, -v35, v34, v33
	v_cmp_ge_f32_e64 s[64:65], 0, v36
	v_add_u32_e32 v36, 1, v34
	v_cndmask_b32_e64 v35, v34, v35, s[64:65]
	v_fma_f32 v34, -v36, v34, v33
	v_cmp_lt_f32_e64 s[64:65], 0, v34
	v_cndmask_b32_e64 v34, v35, v36, s[64:65]
	v_mul_f32_e32 v35, 0x37800000, v34
	v_cndmask_b32_e32 v34, v34, v35, vcc
	v_cmp_class_f32_e32 vcc, v33, v30
	v_cndmask_b32_e32 v33, v34, v33, vcc
	v_cmp_nge_f32_e32 vcc, 1.0, v33
	v_add_f32_e32 v33, 1.0, v31
	v_cndmask_b32_e32 v31, v33, v31, vcc
	s_cbranch_scc1 .LBB31_238
; %bb.239:
	v_mul_f32_e32 v30, 4.0, v31
	s_mov_b32 s68, 0x461c4000
	v_div_scale_f32 v31, s[64:65], s68, s68, v30
	v_div_scale_f32 v32, vcc, v30, s68, v30
	v_rcp_f32_e32 v33, v31
	v_fma_f32 v34, -v31, v33, 1.0
	v_fmac_f32_e32 v33, v34, v33
	v_mul_f32_e32 v34, v32, v33
	v_fma_f32 v35, -v31, v34, v32
	v_fmac_f32_e32 v34, v35, v33
	v_fma_f32 v31, -v31, v34, v32
	v_div_fmas_f32 v31, v31, v33, v34
	v_div_fixup_f32 v30, v31, s68, v30
.LBB31_240:
	s_or_b64 exec, exec, s[66:67]
	v_or_b32_e32 v32, 0x1e00, v0
	v_cmp_gt_u32_e64 s[64:65], s80, v32
                                        ; implicit-def: $vgpr31
	s_and_saveexec_b64 s[68:69], s[64:65]
	s_cbranch_execz .LBB31_244
; %bb.241:
	v_add_u32_e32 v31, s33, v32
	v_lshlrev_b32_e32 v32, 12, v31
	s_mov_b32 s66, 0x7ed55d16
	v_add3_u32 v31, v31, v32, s66
	v_lshrrev_b32_e32 v32, 19, v31
	v_xor_b32_e32 v31, v31, v32
	v_xor_b32_e32 v31, 0xc761c23c, v31
	v_lshl_add_u32 v31, v31, 5, v31
	v_mov_b32_e32 v33, 0xaccf6200
	v_add_u32_e32 v32, 0xe9f8cc1d, v31
	v_lshl_add_u32 v31, v31, 9, v33
	v_xor_b32_e32 v31, v32, v31
	v_lshlrev_b32_e32 v32, 3, v31
	s_mov_b32 s66, 0xfd7046c5
	v_add3_u32 v31, v31, v32, s66
	v_xor_b32_sdwa v31, v31, v31 dst_sel:DWORD dst_unused:UNUSED_PAD src0_sel:DWORD src1_sel:WORD_1
	v_xor_b32_e32 v31, 0xb55a4f09, v31
	v_mul_hi_u32 v32, v31, 3
	s_brev_b32 s66, -2
	s_movk_i32 s78, 0x2710
	s_mov_b32 s79, 0xbc8f1391
	v_sub_u32_e32 v33, v31, v32
	v_lshrrev_b32_e32 v33, 1, v33
	v_add_u32_e32 v32, v33, v32
	v_lshrrev_b32_e32 v32, 30, v32
	v_mul_lo_u32 v33, v32, s66
	v_mov_b32_e32 v32, 0
	s_mov_b32 s81, 0xbc8f
	s_brev_b32 s82, 12
	v_sub_u32_e32 v31, v31, v33
	v_max_u32_e32 v33, 1, v31
	s_mov_b32 s83, 0xf800000
	v_mov_b32_e32 v31, 0x260
.LBB31_242:                             ; =>This Inner Loop Header: Depth=1
	v_mul_hi_u32 v34, v33, s79
	s_add_i32 s78, s78, -2
	s_cmp_lg_u32 s78, 0
	v_lshrrev_b32_e32 v34, 15, v34
	v_mul_u32_u24_e32 v35, 0xadc8, v34
	v_sub_u32_e32 v33, v33, v35
	v_mul_lo_u32 v33, v33, s81
	v_mul_u32_u24_e32 v34, 0xd47, v34
	v_xor_b32_e32 v35, 0x7fffffff, v34
	v_cmp_lt_u32_e32 vcc, v33, v34
	v_sub_u32_e32 v34, 0, v34
	v_cndmask_b32_e32 v34, v34, v35, vcc
	v_add_u32_e32 v33, v34, v33
	v_mul_hi_u32 v35, v33, s79
	v_add_u32_e32 v34, -1, v33
	v_cvt_f32_u32_e32 v34, v34
	v_lshrrev_b32_e32 v35, 15, v35
	v_mul_u32_u24_e32 v36, 0xadc8, v35
	v_sub_u32_e32 v33, v33, v36
	v_mul_lo_u32 v33, v33, s81
	v_mul_u32_u24_e32 v35, 0xd47, v35
	v_xor_b32_e32 v36, 0x7fffffff, v35
	v_fma_f32 v34, v34, s82, 0
	v_cmp_lt_u32_e32 vcc, v33, v35
	v_sub_u32_e32 v35, 0, v35
	v_cndmask_b32_e32 v35, v35, v36, vcc
	v_add_u32_e32 v33, v35, v33
	v_add_u32_e32 v35, -1, v33
	v_cvt_f32_u32_e32 v35, v35
	v_fma_f32 v35, v35, s82, 0
	v_mul_f32_e32 v35, v35, v35
	v_fmac_f32_e32 v35, v34, v34
	v_cmp_gt_f32_e32 vcc, s83, v35
	v_mul_f32_e32 v34, 0x4f800000, v35
	v_cndmask_b32_e32 v34, v35, v34, vcc
	v_sqrt_f32_e32 v35, v34
	v_add_u32_e32 v36, -1, v35
	v_fma_f32 v37, -v36, v35, v34
	v_cmp_ge_f32_e64 s[66:67], 0, v37
	v_add_u32_e32 v37, 1, v35
	v_cndmask_b32_e64 v36, v35, v36, s[66:67]
	v_fma_f32 v35, -v37, v35, v34
	v_cmp_lt_f32_e64 s[66:67], 0, v35
	v_cndmask_b32_e64 v35, v36, v37, s[66:67]
	v_mul_f32_e32 v36, 0x37800000, v35
	v_cndmask_b32_e32 v35, v35, v36, vcc
	v_cmp_class_f32_e32 vcc, v34, v31
	v_cndmask_b32_e32 v34, v35, v34, vcc
	v_cmp_nge_f32_e32 vcc, 1.0, v34
	v_add_f32_e32 v34, 1.0, v32
	v_cndmask_b32_e32 v32, v34, v32, vcc
	v_mul_hi_u32 v34, v33, s79
	v_lshrrev_b32_e32 v34, 15, v34
	v_mul_u32_u24_e32 v35, 0xadc8, v34
	v_sub_u32_e32 v33, v33, v35
	v_mul_lo_u32 v33, v33, s81
	v_mul_u32_u24_e32 v34, 0xd47, v34
	v_xor_b32_e32 v35, 0x7fffffff, v34
	v_cmp_lt_u32_e32 vcc, v33, v34
	v_sub_u32_e32 v34, 0, v34
	v_cndmask_b32_e32 v34, v34, v35, vcc
	v_add_u32_e32 v33, v34, v33
	v_mul_hi_u32 v35, v33, s79
	v_add_u32_e32 v34, -1, v33
	v_cvt_f32_u32_e32 v34, v34
	v_lshrrev_b32_e32 v35, 15, v35
	v_mul_u32_u24_e32 v36, 0xadc8, v35
	v_sub_u32_e32 v33, v33, v36
	v_mul_lo_u32 v33, v33, s81
	v_mul_u32_u24_e32 v35, 0xd47, v35
	v_xor_b32_e32 v36, 0x7fffffff, v35
	v_fma_f32 v34, v34, s82, 0
	v_cmp_lt_u32_e32 vcc, v33, v35
	v_sub_u32_e32 v35, 0, v35
	v_cndmask_b32_e32 v35, v35, v36, vcc
	v_add_u32_e32 v33, v35, v33
	v_add_u32_e32 v35, -1, v33
	v_cvt_f32_u32_e32 v35, v35
	v_fma_f32 v35, v35, s82, 0
	v_mul_f32_e32 v35, v35, v35
	v_fmac_f32_e32 v35, v34, v34
	v_cmp_gt_f32_e32 vcc, s83, v35
	v_mul_f32_e32 v34, 0x4f800000, v35
	v_cndmask_b32_e32 v34, v35, v34, vcc
	v_sqrt_f32_e32 v35, v34
	v_add_u32_e32 v36, -1, v35
	v_fma_f32 v37, -v36, v35, v34
	v_cmp_ge_f32_e64 s[66:67], 0, v37
	v_add_u32_e32 v37, 1, v35
	v_cndmask_b32_e64 v36, v35, v36, s[66:67]
	v_fma_f32 v35, -v37, v35, v34
	v_cmp_lt_f32_e64 s[66:67], 0, v35
	v_cndmask_b32_e64 v35, v36, v37, s[66:67]
	v_mul_f32_e32 v36, 0x37800000, v35
	v_cndmask_b32_e32 v35, v35, v36, vcc
	v_cmp_class_f32_e32 vcc, v34, v31
	v_cndmask_b32_e32 v34, v35, v34, vcc
	v_cmp_nge_f32_e32 vcc, 1.0, v34
	v_add_f32_e32 v34, 1.0, v32
	v_cndmask_b32_e32 v32, v34, v32, vcc
	s_cbranch_scc1 .LBB31_242
; %bb.243:
	v_mul_f32_e32 v31, 4.0, v32
	s_mov_b32 s78, 0x461c4000
	v_div_scale_f32 v32, s[66:67], s78, s78, v31
	v_div_scale_f32 v33, vcc, v31, s78, v31
	v_rcp_f32_e32 v34, v32
	v_fma_f32 v35, -v32, v34, 1.0
	v_fmac_f32_e32 v34, v35, v34
	v_mul_f32_e32 v35, v33, v34
	v_fma_f32 v36, -v32, v35, v33
	v_fmac_f32_e32 v35, v36, v34
	v_fma_f32 v32, -v32, v35, v33
	v_div_fmas_f32 v32, v32, v34, v35
	v_div_fixup_f32 v31, v32, s78, v31
.LBB31_244:
	s_or_b64 exec, exec, s[68:69]
	v_or_b32_e32 v33, 0x1f00, v0
	v_cmp_gt_u32_e64 s[66:67], s80, v33
                                        ; implicit-def: $vgpr32
	s_and_saveexec_b64 s[78:79], s[66:67]
	s_cbranch_execz .LBB31_248
; %bb.245:
	v_add_u32_e32 v32, s33, v33
	v_lshlrev_b32_e32 v33, 12, v32
	s_mov_b32 s33, 0x7ed55d16
	v_add3_u32 v32, v32, v33, s33
	v_lshrrev_b32_e32 v33, 19, v32
	v_xor_b32_e32 v32, v32, v33
	v_xor_b32_e32 v32, 0xc761c23c, v32
	v_lshl_add_u32 v32, v32, 5, v32
	v_mov_b32_e32 v34, 0xaccf6200
	v_add_u32_e32 v33, 0xe9f8cc1d, v32
	v_lshl_add_u32 v32, v32, 9, v34
	v_xor_b32_e32 v32, v33, v32
	v_lshlrev_b32_e32 v33, 3, v32
	s_mov_b32 s33, 0xfd7046c5
	v_add3_u32 v32, v32, v33, s33
	v_xor_b32_sdwa v32, v32, v32 dst_sel:DWORD dst_unused:UNUSED_PAD src0_sel:DWORD src1_sel:WORD_1
	v_xor_b32_e32 v32, 0xb55a4f09, v32
	v_mul_hi_u32 v33, v32, 3
	s_brev_b32 s33, -2
	s_mov_b32 s81, 0xbc8f1391
	s_mov_b32 s82, 0xbc8f
	v_sub_u32_e32 v34, v32, v33
	v_lshrrev_b32_e32 v34, 1, v34
	v_add_u32_e32 v33, v34, v33
	v_lshrrev_b32_e32 v33, 30, v33
	v_mul_lo_u32 v34, v33, s33
	v_mov_b32_e32 v33, 0
	s_movk_i32 s33, 0x2710
	s_brev_b32 s83, 12
	v_sub_u32_e32 v32, v32, v34
	v_max_u32_e32 v34, 1, v32
	s_mov_b32 s84, 0xf800000
	v_mov_b32_e32 v32, 0x260
.LBB31_246:                             ; =>This Inner Loop Header: Depth=1
	v_mul_hi_u32 v35, v34, s81
	s_add_i32 s33, s33, -2
	s_cmp_lg_u32 s33, 0
	v_lshrrev_b32_e32 v35, 15, v35
	v_mul_u32_u24_e32 v36, 0xadc8, v35
	v_sub_u32_e32 v34, v34, v36
	v_mul_lo_u32 v34, v34, s82
	v_mul_u32_u24_e32 v35, 0xd47, v35
	v_xor_b32_e32 v36, 0x7fffffff, v35
	v_cmp_lt_u32_e32 vcc, v34, v35
	v_sub_u32_e32 v35, 0, v35
	v_cndmask_b32_e32 v35, v35, v36, vcc
	v_add_u32_e32 v34, v35, v34
	v_mul_hi_u32 v36, v34, s81
	v_add_u32_e32 v35, -1, v34
	v_cvt_f32_u32_e32 v35, v35
	v_lshrrev_b32_e32 v36, 15, v36
	v_mul_u32_u24_e32 v37, 0xadc8, v36
	v_sub_u32_e32 v34, v34, v37
	v_mul_lo_u32 v34, v34, s82
	v_mul_u32_u24_e32 v36, 0xd47, v36
	v_xor_b32_e32 v37, 0x7fffffff, v36
	v_fma_f32 v35, v35, s83, 0
	v_cmp_lt_u32_e32 vcc, v34, v36
	v_sub_u32_e32 v36, 0, v36
	v_cndmask_b32_e32 v36, v36, v37, vcc
	v_add_u32_e32 v34, v36, v34
	v_add_u32_e32 v36, -1, v34
	v_cvt_f32_u32_e32 v36, v36
	v_fma_f32 v36, v36, s83, 0
	v_mul_f32_e32 v36, v36, v36
	v_fmac_f32_e32 v36, v35, v35
	v_cmp_gt_f32_e32 vcc, s84, v36
	v_mul_f32_e32 v35, 0x4f800000, v36
	v_cndmask_b32_e32 v35, v36, v35, vcc
	v_sqrt_f32_e32 v36, v35
	v_add_u32_e32 v37, -1, v36
	v_fma_f32 v38, -v37, v36, v35
	v_cmp_ge_f32_e64 s[68:69], 0, v38
	v_add_u32_e32 v38, 1, v36
	v_cndmask_b32_e64 v37, v36, v37, s[68:69]
	v_fma_f32 v36, -v38, v36, v35
	v_cmp_lt_f32_e64 s[68:69], 0, v36
	v_cndmask_b32_e64 v36, v37, v38, s[68:69]
	v_mul_f32_e32 v37, 0x37800000, v36
	v_cndmask_b32_e32 v36, v36, v37, vcc
	v_cmp_class_f32_e32 vcc, v35, v32
	v_cndmask_b32_e32 v35, v36, v35, vcc
	v_cmp_nge_f32_e32 vcc, 1.0, v35
	v_add_f32_e32 v35, 1.0, v33
	v_cndmask_b32_e32 v33, v35, v33, vcc
	v_mul_hi_u32 v35, v34, s81
	v_lshrrev_b32_e32 v35, 15, v35
	v_mul_u32_u24_e32 v36, 0xadc8, v35
	v_sub_u32_e32 v34, v34, v36
	v_mul_lo_u32 v34, v34, s82
	v_mul_u32_u24_e32 v35, 0xd47, v35
	v_xor_b32_e32 v36, 0x7fffffff, v35
	v_cmp_lt_u32_e32 vcc, v34, v35
	v_sub_u32_e32 v35, 0, v35
	v_cndmask_b32_e32 v35, v35, v36, vcc
	v_add_u32_e32 v34, v35, v34
	v_mul_hi_u32 v36, v34, s81
	v_add_u32_e32 v35, -1, v34
	v_cvt_f32_u32_e32 v35, v35
	v_lshrrev_b32_e32 v36, 15, v36
	v_mul_u32_u24_e32 v37, 0xadc8, v36
	v_sub_u32_e32 v34, v34, v37
	v_mul_lo_u32 v34, v34, s82
	v_mul_u32_u24_e32 v36, 0xd47, v36
	v_xor_b32_e32 v37, 0x7fffffff, v36
	v_fma_f32 v35, v35, s83, 0
	v_cmp_lt_u32_e32 vcc, v34, v36
	v_sub_u32_e32 v36, 0, v36
	v_cndmask_b32_e32 v36, v36, v37, vcc
	v_add_u32_e32 v34, v36, v34
	v_add_u32_e32 v36, -1, v34
	v_cvt_f32_u32_e32 v36, v36
	v_fma_f32 v36, v36, s83, 0
	v_mul_f32_e32 v36, v36, v36
	v_fmac_f32_e32 v36, v35, v35
	v_cmp_gt_f32_e32 vcc, s84, v36
	v_mul_f32_e32 v35, 0x4f800000, v36
	v_cndmask_b32_e32 v35, v36, v35, vcc
	v_sqrt_f32_e32 v36, v35
	v_add_u32_e32 v37, -1, v36
	v_fma_f32 v38, -v37, v36, v35
	v_cmp_ge_f32_e64 s[68:69], 0, v38
	v_add_u32_e32 v38, 1, v36
	v_cndmask_b32_e64 v37, v36, v37, s[68:69]
	v_fma_f32 v36, -v38, v36, v35
	v_cmp_lt_f32_e64 s[68:69], 0, v36
	v_cndmask_b32_e64 v36, v37, v38, s[68:69]
	v_mul_f32_e32 v37, 0x37800000, v36
	v_cndmask_b32_e32 v36, v36, v37, vcc
	v_cmp_class_f32_e32 vcc, v35, v32
	v_cndmask_b32_e32 v35, v36, v35, vcc
	v_cmp_nge_f32_e32 vcc, 1.0, v35
	v_add_f32_e32 v35, 1.0, v33
	v_cndmask_b32_e32 v33, v35, v33, vcc
	s_cbranch_scc1 .LBB31_246
; %bb.247:
	v_mul_f32_e32 v32, 4.0, v33
	s_mov_b32 s33, 0x461c4000
	v_div_scale_f32 v33, s[68:69], s33, s33, v32
	v_div_scale_f32 v34, vcc, v32, s33, v32
	v_rcp_f32_e32 v35, v33
	v_fma_f32 v36, -v33, v35, 1.0
	v_fmac_f32_e32 v35, v36, v35
	v_mul_f32_e32 v36, v34, v35
	v_fma_f32 v37, -v33, v36, v34
	v_fmac_f32_e32 v36, v37, v35
	v_fma_f32 v33, -v33, v36, v34
	v_div_fmas_f32 v33, v33, v35, v36
	v_div_fixup_f32 v32, v33, s33, v32
.LBB31_248:
	s_or_b64 exec, exec, s[78:79]
	v_add_f32_e32 v2, v1, v2
	v_cndmask_b32_e64 v1, v1, v2, s[0:1]
	v_add_f32_e32 v2, v1, v3
	v_cndmask_b32_e64 v1, v1, v2, s[2:3]
	;; [unrolled: 2-line block ×31, first 2 shown]
	v_mbcnt_lo_u32_b32 v2, -1, 0
	v_mbcnt_hi_u32_b32 v2, -1, v2
	v_and_b32_e32 v4, 63, v2
	v_cmp_ne_u32_e32 vcc, 63, v4
	v_addc_co_u32_e32 v3, vcc, 0, v2, vcc
	v_lshlrev_b32_e32 v3, 2, v3
	ds_bpermute_b32 v3, v3, v1
	s_min_u32 s8, s80, 0x100
	v_and_b32_e32 v5, 0xc0, v0
	v_sub_u32_e64 v5, s8, v5 clamp
	v_add_u32_e32 v6, 1, v4
	v_cmp_gt_u32_e64 s[0:1], 62, v4
	s_waitcnt lgkmcnt(0)
	v_add_f32_e32 v3, v1, v3
	v_cmp_lt_u32_e32 vcc, v6, v5
	v_cndmask_b32_e64 v6, 0, 2, s[0:1]
	v_cndmask_b32_e32 v3, v1, v3, vcc
	v_add_lshl_u32 v6, v6, v2, 2
	ds_bpermute_b32 v6, v6, v3
	v_add_u32_e32 v7, 2, v4
	v_cmp_lt_u32_e64 s[0:1], v7, v5
	v_add_u32_e32 v7, 4, v4
	s_waitcnt lgkmcnt(0)
	v_add_f32_e32 v6, v3, v6
	v_cndmask_b32_e64 v3, v3, v6, s[0:1]
	v_cmp_gt_u32_e64 s[0:1], 60, v4
	v_cndmask_b32_e64 v6, 0, 4, s[0:1]
	v_add_lshl_u32 v6, v6, v2, 2
	ds_bpermute_b32 v6, v6, v3
	v_cmp_lt_u32_e64 s[0:1], v7, v5
	v_add_u32_e32 v7, 8, v4
	s_waitcnt lgkmcnt(0)
	v_add_f32_e32 v6, v3, v6
	v_cndmask_b32_e64 v3, v3, v6, s[0:1]
	v_cmp_gt_u32_e64 s[0:1], 56, v4
	v_cndmask_b32_e64 v6, 0, 8, s[0:1]
	v_add_lshl_u32 v6, v6, v2, 2
	ds_bpermute_b32 v6, v6, v3
	;; [unrolled: 9-line block ×3, first 2 shown]
	v_cmp_lt_u32_e64 s[0:1], v7, v5
	v_add_u32_e32 v4, 32, v4
	s_waitcnt lgkmcnt(0)
	v_add_f32_e32 v6, v3, v6
	v_cndmask_b32_e64 v6, v3, v6, s[0:1]
	v_lshlrev_b32_e32 v3, 2, v2
	v_or_b32_e32 v7, 0x80, v3
	ds_bpermute_b32 v7, v7, v6
	v_cmp_lt_u32_e64 s[0:1], v4, v5
	s_waitcnt lgkmcnt(0)
	v_add_f32_e32 v7, v6, v7
	v_cndmask_b32_e64 v4, v6, v7, s[0:1]
	v_cndmask_b32_e32 v1, v1, v4, vcc
	v_cmp_eq_u32_e32 vcc, 0, v2
	s_and_saveexec_b64 s[0:1], vcc
; %bb.249:
	v_lshrrev_b32_e32 v4, 4, v0
	v_and_b32_e32 v4, 12, v4
	ds_write_b32 v4, v1 offset:96
; %bb.250:
	s_or_b64 exec, exec, s[0:1]
	v_cmp_gt_u32_e32 vcc, 4, v0
	s_waitcnt lgkmcnt(0)
	s_barrier
	s_and_saveexec_b64 s[2:3], vcc
	s_cbranch_execz .LBB31_252
; %bb.251:
	ds_read_b32 v1, v3 offset:96
	v_and_b32_e32 v4, 3, v2
	v_cmp_ne_u32_e32 vcc, 3, v4
	v_addc_co_u32_e32 v2, vcc, 0, v2, vcc
	v_lshlrev_b32_e32 v2, 2, v2
	s_waitcnt lgkmcnt(0)
	ds_bpermute_b32 v2, v2, v1
	s_add_i32 s8, s8, 63
	s_lshr_b32 s0, s8, 6
	v_add_u32_e32 v5, 1, v4
	v_cmp_gt_u32_e32 vcc, s0, v5
	s_waitcnt lgkmcnt(0)
	v_add_f32_e32 v2, v1, v2
	v_cndmask_b32_e32 v2, v1, v2, vcc
	v_or_b32_e32 v3, 8, v3
	ds_bpermute_b32 v3, v3, v2
	v_add_u32_e32 v4, 2, v4
	v_cmp_gt_u32_e64 s[0:1], s0, v4
	s_waitcnt lgkmcnt(0)
	v_add_f32_e32 v3, v2, v3
	v_cndmask_b32_e64 v2, v2, v3, s[0:1]
	v_cndmask_b32_e32 v1, v1, v2, vcc
.LBB31_252:
	s_or_b64 exec, exec, s[2:3]
	v_cmp_eq_u32_e64 s[0:1], 0, v0
	s_and_b64 vcc, exec, s[76:77]
	s_cbranch_vccnz .LBB31_79
.LBB31_253:
	s_branch .LBB31_350
.LBB31_254:
	s_mov_b64 s[0:1], -1
                                        ; implicit-def: $vgpr1
.LBB31_255:
	s_and_b64 vcc, exec, s[0:1]
	s_cbranch_vccz .LBB31_325
; %bb.256:
	s_sub_i32 s40, s72, s10
	v_mov_b32_e32 v1, 0
	v_cmp_gt_u32_e32 vcc, s40, v0
	v_mov_b32_e32 v2, v1
	v_mov_b32_e32 v3, v1
	;; [unrolled: 1-line block ×15, first 2 shown]
	s_and_saveexec_b64 s[2:3], vcc
	s_cbranch_execz .LBB31_260
; %bb.257:
	v_add_u32_e32 v2, s33, v0
	v_lshlrev_b32_e32 v3, 12, v2
	s_mov_b32 s0, 0x7ed55d16
	v_add3_u32 v2, v2, v3, s0
	v_lshrrev_b32_e32 v3, 19, v2
	v_xor_b32_e32 v2, v2, v3
	v_xor_b32_e32 v2, 0xc761c23c, v2
	v_lshl_add_u32 v2, v2, 5, v2
	v_mov_b32_e32 v4, 0xaccf6200
	v_add_u32_e32 v3, 0xe9f8cc1d, v2
	v_lshl_add_u32 v2, v2, 9, v4
	v_xor_b32_e32 v2, v3, v2
	v_lshlrev_b32_e32 v3, 3, v2
	s_mov_b32 s0, 0xfd7046c5
	v_add3_u32 v2, v2, v3, s0
	v_xor_b32_sdwa v2, v2, v2 dst_sel:DWORD dst_unused:UNUSED_PAD src0_sel:DWORD src1_sel:WORD_1
	v_xor_b32_e32 v2, 0xb55a4f09, v2
	v_mul_hi_u32 v3, v2, 3
	s_brev_b32 s0, -2
	s_movk_i32 s8, 0x2710
	s_mov_b32 s9, 0xbc8f1391
	v_sub_u32_e32 v4, v2, v3
	v_lshrrev_b32_e32 v4, 1, v4
	v_add_u32_e32 v3, v4, v3
	v_lshrrev_b32_e32 v3, 30, v3
	v_mul_lo_u32 v3, v3, s0
	s_mov_b32 s10, 0xbc8f
	s_brev_b32 s11, 12
	s_mov_b32 s12, 0xf800000
	v_sub_u32_e32 v2, v2, v3
	v_max_u32_e32 v3, 1, v2
	v_mov_b32_e32 v2, 0x260
.LBB31_258:                             ; =>This Inner Loop Header: Depth=1
	v_mul_hi_u32 v4, v3, s9
	v_add_f32_e32 v5, 1.0, v1
	s_add_i32 s8, s8, -2
	s_cmp_lg_u32 s8, 0
	v_lshrrev_b32_e32 v4, 15, v4
	v_mul_u32_u24_e32 v6, 0xadc8, v4
	v_sub_u32_e32 v3, v3, v6
	v_mul_lo_u32 v3, v3, s10
	v_mul_u32_u24_e32 v4, 0xd47, v4
	v_xor_b32_e32 v6, 0x7fffffff, v4
	v_sub_u32_e32 v7, 0, v4
	v_cmp_lt_u32_e32 vcc, v3, v4
	v_cndmask_b32_e32 v4, v7, v6, vcc
	v_add_u32_e32 v3, v4, v3
	v_mul_hi_u32 v6, v3, s9
	v_add_u32_e32 v4, -1, v3
	v_cvt_f32_u32_e32 v4, v4
	v_lshrrev_b32_e32 v6, 15, v6
	v_mul_u32_u24_e32 v7, 0xadc8, v6
	v_sub_u32_e32 v3, v3, v7
	v_mul_lo_u32 v3, v3, s10
	v_mul_u32_u24_e32 v6, 0xd47, v6
	v_xor_b32_e32 v7, 0x7fffffff, v6
	v_sub_u32_e32 v8, 0, v6
	v_cmp_lt_u32_e32 vcc, v3, v6
	v_cndmask_b32_e32 v6, v8, v7, vcc
	v_add_u32_e32 v3, v6, v3
	v_mul_hi_u32 v7, v3, s9
	v_add_u32_e32 v6, -1, v3
	v_cvt_f32_u32_e32 v6, v6
	v_fma_f32 v4, v4, s11, 0
	v_lshrrev_b32_e32 v7, 15, v7
	v_mul_u32_u24_e32 v8, 0xadc8, v7
	v_fma_f32 v6, v6, s11, 0
	v_sub_u32_e32 v3, v3, v8
	v_mul_f32_e32 v6, v6, v6
	v_mul_lo_u32 v3, v3, s10
	v_fmac_f32_e32 v6, v4, v4
	v_mul_f32_e32 v4, 0x4f800000, v6
	v_cmp_gt_f32_e32 vcc, s12, v6
	v_mul_u32_u24_e32 v7, 0xd47, v7
	v_cndmask_b32_e32 v4, v6, v4, vcc
	v_xor_b32_e32 v8, 0x7fffffff, v7
	v_sub_u32_e32 v9, 0, v7
	v_sqrt_f32_e32 v6, v4
	v_cmp_lt_u32_e64 s[0:1], v3, v7
	v_cndmask_b32_e64 v7, v9, v8, s[0:1]
	v_add_u32_e32 v3, v7, v3
	v_mul_hi_u32 v8, v3, s9
	v_add_u32_e32 v9, -1, v6
	v_add_u32_e32 v10, 1, v6
	v_fma_f32 v11, -v9, v6, v4
	v_fma_f32 v12, -v10, v6, v4
	v_cmp_ge_f32_e64 s[0:1], 0, v11
	v_cndmask_b32_e64 v6, v6, v9, s[0:1]
	v_cmp_lt_f32_e64 s[0:1], 0, v12
	v_lshrrev_b32_e32 v8, 15, v8
	v_cndmask_b32_e64 v6, v6, v10, s[0:1]
	v_mul_u32_u24_e32 v10, 0xadc8, v8
	v_add_u32_e32 v7, -1, v3
	v_sub_u32_e32 v3, v3, v10
	v_mul_f32_e32 v9, 0x37800000, v6
	v_mul_lo_u32 v3, v3, s10
	v_cndmask_b32_e32 v6, v6, v9, vcc
	v_cmp_class_f32_e32 vcc, v4, v2
	v_cndmask_b32_e32 v4, v6, v4, vcc
	v_mul_u32_u24_e32 v8, 0xd47, v8
	v_cmp_nge_f32_e32 vcc, 1.0, v4
	v_xor_b32_e32 v9, 0x7fffffff, v8
	v_sub_u32_e32 v10, 0, v8
	v_cndmask_b32_e32 v1, v5, v1, vcc
	v_cmp_lt_u32_e32 vcc, v3, v8
	v_cndmask_b32_e32 v5, v10, v9, vcc
	v_add_u32_e32 v3, v5, v3
	v_add_u32_e32 v5, -1, v3
	v_cvt_f32_u32_e32 v5, v5
	v_cvt_f32_u32_e32 v7, v7
	v_add_f32_e32 v4, 1.0, v1
	v_fma_f32 v5, v5, s11, 0
	v_fma_f32 v7, v7, s11, 0
	v_mul_f32_e32 v5, v5, v5
	v_fmac_f32_e32 v5, v7, v7
	v_mul_f32_e32 v6, 0x4f800000, v5
	v_cmp_gt_f32_e32 vcc, s12, v5
	v_cndmask_b32_e32 v5, v5, v6, vcc
	v_sqrt_f32_e32 v6, v5
	v_add_u32_e32 v7, -1, v6
	v_add_u32_e32 v8, 1, v6
	v_fma_f32 v9, -v7, v6, v5
	v_fma_f32 v10, -v8, v6, v5
	v_cmp_ge_f32_e64 s[0:1], 0, v9
	v_cndmask_b32_e64 v6, v6, v7, s[0:1]
	v_cmp_lt_f32_e64 s[0:1], 0, v10
	v_cndmask_b32_e64 v6, v6, v8, s[0:1]
	v_mul_f32_e32 v7, 0x37800000, v6
	v_cndmask_b32_e32 v6, v6, v7, vcc
	v_cmp_class_f32_e32 vcc, v5, v2
	v_cndmask_b32_e32 v5, v6, v5, vcc
	v_cmp_nge_f32_e32 vcc, 1.0, v5
	v_cndmask_b32_e32 v1, v4, v1, vcc
	s_cbranch_scc1 .LBB31_258
; %bb.259:
	v_mul_f32_e32 v1, 4.0, v1
	s_mov_b32 s8, 0x461c4000
	v_div_scale_f32 v2, s[0:1], s8, s8, v1
	v_div_scale_f32 v3, vcc, v1, s8, v1
	v_rcp_f32_e32 v4, v2
	v_fma_f32 v5, -v2, v4, 1.0
	v_fmac_f32_e32 v4, v5, v4
	v_mul_f32_e32 v5, v3, v4
	v_fma_f32 v6, -v2, v5, v3
	v_fmac_f32_e32 v5, v6, v4
	v_fma_f32 v2, -v2, v5, v3
	v_div_fmas_f32 v16, v2, v4, v5
	v_mov_b32_e32 v2, 0
	v_mov_b32_e32 v3, v2
	;; [unrolled: 1-line block ×14, first 2 shown]
	v_div_fixup_f32 v1, v16, s8, v1
	v_mov_b32_e32 v16, v2
.LBB31_260:
	s_or_b64 exec, exec, s[2:3]
	v_or_b32_e32 v17, 0x100, v0
	v_cmp_gt_u32_e64 s[0:1], s40, v17
	s_and_saveexec_b64 s[8:9], s[0:1]
	s_cbranch_execz .LBB31_264
; %bb.261:
	v_add_u32_e32 v2, s33, v17
	v_lshlrev_b32_e32 v17, 12, v2
	s_mov_b32 s2, 0x7ed55d16
	v_add3_u32 v2, v2, v17, s2
	v_lshrrev_b32_e32 v17, 19, v2
	v_xor_b32_e32 v2, v2, v17
	v_xor_b32_e32 v2, 0xc761c23c, v2
	v_lshl_add_u32 v2, v2, 5, v2
	v_mov_b32_e32 v18, 0xaccf6200
	v_add_u32_e32 v17, 0xe9f8cc1d, v2
	v_lshl_add_u32 v2, v2, 9, v18
	v_xor_b32_e32 v2, v17, v2
	v_lshlrev_b32_e32 v17, 3, v2
	s_mov_b32 s2, 0xfd7046c5
	v_add3_u32 v2, v2, v17, s2
	v_xor_b32_sdwa v2, v2, v2 dst_sel:DWORD dst_unused:UNUSED_PAD src0_sel:DWORD src1_sel:WORD_1
	v_xor_b32_e32 v2, 0xb55a4f09, v2
	v_mul_hi_u32 v17, v2, 3
	s_brev_b32 s2, -2
	s_movk_i32 s10, 0x2710
	s_mov_b32 s11, 0xbc8f1391
	v_sub_u32_e32 v18, v2, v17
	v_lshrrev_b32_e32 v18, 1, v18
	v_add_u32_e32 v17, v18, v17
	v_lshrrev_b32_e32 v17, 30, v17
	v_mul_lo_u32 v18, v17, s2
	v_mov_b32_e32 v17, 0
	s_mov_b32 s12, 0xbc8f
	s_brev_b32 s13, 12
	v_sub_u32_e32 v2, v2, v18
	v_max_u32_e32 v18, 1, v2
	s_mov_b32 s14, 0xf800000
	v_mov_b32_e32 v2, 0x260
.LBB31_262:                             ; =>This Inner Loop Header: Depth=1
	v_mul_hi_u32 v19, v18, s11
	s_add_i32 s10, s10, -2
	s_cmp_lg_u32 s10, 0
	v_lshrrev_b32_e32 v19, 15, v19
	v_mul_u32_u24_e32 v20, 0xadc8, v19
	v_sub_u32_e32 v18, v18, v20
	v_mul_lo_u32 v18, v18, s12
	v_mul_u32_u24_e32 v19, 0xd47, v19
	v_xor_b32_e32 v20, 0x7fffffff, v19
	v_cmp_lt_u32_e32 vcc, v18, v19
	v_sub_u32_e32 v19, 0, v19
	v_cndmask_b32_e32 v19, v19, v20, vcc
	v_add_u32_e32 v18, v19, v18
	v_mul_hi_u32 v20, v18, s11
	v_add_u32_e32 v19, -1, v18
	v_cvt_f32_u32_e32 v19, v19
	v_lshrrev_b32_e32 v20, 15, v20
	v_mul_u32_u24_e32 v21, 0xadc8, v20
	v_sub_u32_e32 v18, v18, v21
	v_mul_lo_u32 v18, v18, s12
	v_mul_u32_u24_e32 v20, 0xd47, v20
	v_xor_b32_e32 v21, 0x7fffffff, v20
	v_fma_f32 v19, v19, s13, 0
	v_cmp_lt_u32_e32 vcc, v18, v20
	v_sub_u32_e32 v20, 0, v20
	v_cndmask_b32_e32 v20, v20, v21, vcc
	v_add_u32_e32 v18, v20, v18
	v_add_u32_e32 v20, -1, v18
	v_cvt_f32_u32_e32 v20, v20
	v_fma_f32 v20, v20, s13, 0
	v_mul_f32_e32 v20, v20, v20
	v_fmac_f32_e32 v20, v19, v19
	v_cmp_gt_f32_e32 vcc, s14, v20
	v_mul_f32_e32 v19, 0x4f800000, v20
	v_cndmask_b32_e32 v19, v20, v19, vcc
	v_sqrt_f32_e32 v20, v19
	v_add_u32_e32 v21, -1, v20
	v_fma_f32 v22, -v21, v20, v19
	v_cmp_ge_f32_e64 s[2:3], 0, v22
	v_add_u32_e32 v22, 1, v20
	v_cndmask_b32_e64 v21, v20, v21, s[2:3]
	v_fma_f32 v20, -v22, v20, v19
	v_cmp_lt_f32_e64 s[2:3], 0, v20
	v_cndmask_b32_e64 v20, v21, v22, s[2:3]
	v_mul_f32_e32 v21, 0x37800000, v20
	v_cndmask_b32_e32 v20, v20, v21, vcc
	v_cmp_class_f32_e32 vcc, v19, v2
	v_cndmask_b32_e32 v19, v20, v19, vcc
	v_cmp_nge_f32_e32 vcc, 1.0, v19
	v_add_f32_e32 v19, 1.0, v17
	v_cndmask_b32_e32 v17, v19, v17, vcc
	v_mul_hi_u32 v19, v18, s11
	v_lshrrev_b32_e32 v19, 15, v19
	v_mul_u32_u24_e32 v20, 0xadc8, v19
	v_sub_u32_e32 v18, v18, v20
	v_mul_lo_u32 v18, v18, s12
	v_mul_u32_u24_e32 v19, 0xd47, v19
	v_xor_b32_e32 v20, 0x7fffffff, v19
	v_cmp_lt_u32_e32 vcc, v18, v19
	v_sub_u32_e32 v19, 0, v19
	v_cndmask_b32_e32 v19, v19, v20, vcc
	v_add_u32_e32 v18, v19, v18
	v_mul_hi_u32 v20, v18, s11
	v_add_u32_e32 v19, -1, v18
	v_cvt_f32_u32_e32 v19, v19
	v_lshrrev_b32_e32 v20, 15, v20
	v_mul_u32_u24_e32 v21, 0xadc8, v20
	v_sub_u32_e32 v18, v18, v21
	v_mul_lo_u32 v18, v18, s12
	v_mul_u32_u24_e32 v20, 0xd47, v20
	v_xor_b32_e32 v21, 0x7fffffff, v20
	v_fma_f32 v19, v19, s13, 0
	v_cmp_lt_u32_e32 vcc, v18, v20
	v_sub_u32_e32 v20, 0, v20
	v_cndmask_b32_e32 v20, v20, v21, vcc
	v_add_u32_e32 v18, v20, v18
	v_add_u32_e32 v20, -1, v18
	v_cvt_f32_u32_e32 v20, v20
	v_fma_f32 v20, v20, s13, 0
	v_mul_f32_e32 v20, v20, v20
	v_fmac_f32_e32 v20, v19, v19
	v_cmp_gt_f32_e32 vcc, s14, v20
	v_mul_f32_e32 v19, 0x4f800000, v20
	v_cndmask_b32_e32 v19, v20, v19, vcc
	v_sqrt_f32_e32 v20, v19
	v_add_u32_e32 v21, -1, v20
	v_fma_f32 v22, -v21, v20, v19
	v_cmp_ge_f32_e64 s[2:3], 0, v22
	v_add_u32_e32 v22, 1, v20
	v_cndmask_b32_e64 v21, v20, v21, s[2:3]
	v_fma_f32 v20, -v22, v20, v19
	v_cmp_lt_f32_e64 s[2:3], 0, v20
	v_cndmask_b32_e64 v20, v21, v22, s[2:3]
	v_mul_f32_e32 v21, 0x37800000, v20
	v_cndmask_b32_e32 v20, v20, v21, vcc
	v_cmp_class_f32_e32 vcc, v19, v2
	v_cndmask_b32_e32 v19, v20, v19, vcc
	v_cmp_nge_f32_e32 vcc, 1.0, v19
	v_add_f32_e32 v19, 1.0, v17
	v_cndmask_b32_e32 v17, v19, v17, vcc
	s_cbranch_scc1 .LBB31_262
; %bb.263:
	v_mul_f32_e32 v2, 4.0, v17
	s_mov_b32 s10, 0x461c4000
	v_div_scale_f32 v17, s[2:3], s10, s10, v2
	v_div_scale_f32 v18, vcc, v2, s10, v2
	v_rcp_f32_e32 v19, v17
	v_fma_f32 v20, -v17, v19, 1.0
	v_fmac_f32_e32 v19, v20, v19
	v_mul_f32_e32 v20, v18, v19
	v_fma_f32 v21, -v17, v20, v18
	v_fmac_f32_e32 v20, v21, v19
	v_fma_f32 v17, -v17, v20, v18
	v_div_fmas_f32 v17, v17, v19, v20
	v_div_fixup_f32 v2, v17, s10, v2
.LBB31_264:
	s_or_b64 exec, exec, s[8:9]
	v_or_b32_e32 v17, 0x200, v0
	v_cmp_gt_u32_e64 s[2:3], s40, v17
	s_and_saveexec_b64 s[10:11], s[2:3]
	s_cbranch_execz .LBB31_268
; %bb.265:
	v_add_u32_e32 v3, s33, v17
	v_lshlrev_b32_e32 v17, 12, v3
	s_mov_b32 s8, 0x7ed55d16
	v_add3_u32 v3, v3, v17, s8
	v_lshrrev_b32_e32 v17, 19, v3
	v_xor_b32_e32 v3, v3, v17
	v_xor_b32_e32 v3, 0xc761c23c, v3
	v_lshl_add_u32 v3, v3, 5, v3
	v_mov_b32_e32 v18, 0xaccf6200
	v_add_u32_e32 v17, 0xe9f8cc1d, v3
	v_lshl_add_u32 v3, v3, 9, v18
	v_xor_b32_e32 v3, v17, v3
	v_lshlrev_b32_e32 v17, 3, v3
	s_mov_b32 s8, 0xfd7046c5
	v_add3_u32 v3, v3, v17, s8
	v_xor_b32_sdwa v3, v3, v3 dst_sel:DWORD dst_unused:UNUSED_PAD src0_sel:DWORD src1_sel:WORD_1
	v_xor_b32_e32 v3, 0xb55a4f09, v3
	v_mul_hi_u32 v17, v3, 3
	s_brev_b32 s8, -2
	s_movk_i32 s12, 0x2710
	s_mov_b32 s13, 0xbc8f1391
	v_sub_u32_e32 v18, v3, v17
	v_lshrrev_b32_e32 v18, 1, v18
	v_add_u32_e32 v17, v18, v17
	v_lshrrev_b32_e32 v17, 30, v17
	v_mul_lo_u32 v18, v17, s8
	v_mov_b32_e32 v17, 0
	s_mov_b32 s14, 0xbc8f
	s_brev_b32 s15, 12
	v_sub_u32_e32 v3, v3, v18
	v_max_u32_e32 v18, 1, v3
	s_mov_b32 s16, 0xf800000
	v_mov_b32_e32 v3, 0x260
.LBB31_266:                             ; =>This Inner Loop Header: Depth=1
	v_mul_hi_u32 v19, v18, s13
	s_add_i32 s12, s12, -2
	s_cmp_lg_u32 s12, 0
	v_lshrrev_b32_e32 v19, 15, v19
	v_mul_u32_u24_e32 v20, 0xadc8, v19
	v_sub_u32_e32 v18, v18, v20
	v_mul_lo_u32 v18, v18, s14
	v_mul_u32_u24_e32 v19, 0xd47, v19
	v_xor_b32_e32 v20, 0x7fffffff, v19
	v_cmp_lt_u32_e32 vcc, v18, v19
	v_sub_u32_e32 v19, 0, v19
	v_cndmask_b32_e32 v19, v19, v20, vcc
	v_add_u32_e32 v18, v19, v18
	v_mul_hi_u32 v20, v18, s13
	v_add_u32_e32 v19, -1, v18
	v_cvt_f32_u32_e32 v19, v19
	v_lshrrev_b32_e32 v20, 15, v20
	v_mul_u32_u24_e32 v21, 0xadc8, v20
	v_sub_u32_e32 v18, v18, v21
	v_mul_lo_u32 v18, v18, s14
	v_mul_u32_u24_e32 v20, 0xd47, v20
	v_xor_b32_e32 v21, 0x7fffffff, v20
	v_fma_f32 v19, v19, s15, 0
	v_cmp_lt_u32_e32 vcc, v18, v20
	v_sub_u32_e32 v20, 0, v20
	v_cndmask_b32_e32 v20, v20, v21, vcc
	v_add_u32_e32 v18, v20, v18
	v_add_u32_e32 v20, -1, v18
	v_cvt_f32_u32_e32 v20, v20
	v_fma_f32 v20, v20, s15, 0
	v_mul_f32_e32 v20, v20, v20
	v_fmac_f32_e32 v20, v19, v19
	v_cmp_gt_f32_e32 vcc, s16, v20
	v_mul_f32_e32 v19, 0x4f800000, v20
	v_cndmask_b32_e32 v19, v20, v19, vcc
	v_sqrt_f32_e32 v20, v19
	v_add_u32_e32 v21, -1, v20
	v_fma_f32 v22, -v21, v20, v19
	v_cmp_ge_f32_e64 s[8:9], 0, v22
	v_add_u32_e32 v22, 1, v20
	v_cndmask_b32_e64 v21, v20, v21, s[8:9]
	v_fma_f32 v20, -v22, v20, v19
	v_cmp_lt_f32_e64 s[8:9], 0, v20
	v_cndmask_b32_e64 v20, v21, v22, s[8:9]
	v_mul_f32_e32 v21, 0x37800000, v20
	v_cndmask_b32_e32 v20, v20, v21, vcc
	v_cmp_class_f32_e32 vcc, v19, v3
	v_cndmask_b32_e32 v19, v20, v19, vcc
	v_cmp_nge_f32_e32 vcc, 1.0, v19
	v_add_f32_e32 v19, 1.0, v17
	v_cndmask_b32_e32 v17, v19, v17, vcc
	v_mul_hi_u32 v19, v18, s13
	v_lshrrev_b32_e32 v19, 15, v19
	v_mul_u32_u24_e32 v20, 0xadc8, v19
	v_sub_u32_e32 v18, v18, v20
	v_mul_lo_u32 v18, v18, s14
	v_mul_u32_u24_e32 v19, 0xd47, v19
	v_xor_b32_e32 v20, 0x7fffffff, v19
	v_cmp_lt_u32_e32 vcc, v18, v19
	v_sub_u32_e32 v19, 0, v19
	v_cndmask_b32_e32 v19, v19, v20, vcc
	v_add_u32_e32 v18, v19, v18
	v_mul_hi_u32 v20, v18, s13
	v_add_u32_e32 v19, -1, v18
	v_cvt_f32_u32_e32 v19, v19
	v_lshrrev_b32_e32 v20, 15, v20
	v_mul_u32_u24_e32 v21, 0xadc8, v20
	v_sub_u32_e32 v18, v18, v21
	v_mul_lo_u32 v18, v18, s14
	v_mul_u32_u24_e32 v20, 0xd47, v20
	v_xor_b32_e32 v21, 0x7fffffff, v20
	v_fma_f32 v19, v19, s15, 0
	v_cmp_lt_u32_e32 vcc, v18, v20
	v_sub_u32_e32 v20, 0, v20
	v_cndmask_b32_e32 v20, v20, v21, vcc
	v_add_u32_e32 v18, v20, v18
	v_add_u32_e32 v20, -1, v18
	v_cvt_f32_u32_e32 v20, v20
	v_fma_f32 v20, v20, s15, 0
	v_mul_f32_e32 v20, v20, v20
	v_fmac_f32_e32 v20, v19, v19
	v_cmp_gt_f32_e32 vcc, s16, v20
	v_mul_f32_e32 v19, 0x4f800000, v20
	v_cndmask_b32_e32 v19, v20, v19, vcc
	v_sqrt_f32_e32 v20, v19
	v_add_u32_e32 v21, -1, v20
	v_fma_f32 v22, -v21, v20, v19
	v_cmp_ge_f32_e64 s[8:9], 0, v22
	v_add_u32_e32 v22, 1, v20
	v_cndmask_b32_e64 v21, v20, v21, s[8:9]
	v_fma_f32 v20, -v22, v20, v19
	v_cmp_lt_f32_e64 s[8:9], 0, v20
	v_cndmask_b32_e64 v20, v21, v22, s[8:9]
	v_mul_f32_e32 v21, 0x37800000, v20
	v_cndmask_b32_e32 v20, v20, v21, vcc
	v_cmp_class_f32_e32 vcc, v19, v3
	v_cndmask_b32_e32 v19, v20, v19, vcc
	v_cmp_nge_f32_e32 vcc, 1.0, v19
	v_add_f32_e32 v19, 1.0, v17
	v_cndmask_b32_e32 v17, v19, v17, vcc
	s_cbranch_scc1 .LBB31_266
; %bb.267:
	v_mul_f32_e32 v3, 4.0, v17
	s_mov_b32 s12, 0x461c4000
	v_div_scale_f32 v17, s[8:9], s12, s12, v3
	v_div_scale_f32 v18, vcc, v3, s12, v3
	v_rcp_f32_e32 v19, v17
	v_fma_f32 v20, -v17, v19, 1.0
	v_fmac_f32_e32 v19, v20, v19
	v_mul_f32_e32 v20, v18, v19
	v_fma_f32 v21, -v17, v20, v18
	v_fmac_f32_e32 v20, v21, v19
	v_fma_f32 v17, -v17, v20, v18
	v_div_fmas_f32 v17, v17, v19, v20
	v_div_fixup_f32 v3, v17, s12, v3
.LBB31_268:
	s_or_b64 exec, exec, s[10:11]
	v_or_b32_e32 v17, 0x300, v0
	v_cmp_gt_u32_e64 s[8:9], s40, v17
	s_and_saveexec_b64 s[12:13], s[8:9]
	s_cbranch_execz .LBB31_272
; %bb.269:
	v_add_u32_e32 v4, s33, v17
	v_lshlrev_b32_e32 v17, 12, v4
	s_mov_b32 s10, 0x7ed55d16
	v_add3_u32 v4, v4, v17, s10
	v_lshrrev_b32_e32 v17, 19, v4
	v_xor_b32_e32 v4, v4, v17
	v_xor_b32_e32 v4, 0xc761c23c, v4
	v_lshl_add_u32 v4, v4, 5, v4
	v_mov_b32_e32 v18, 0xaccf6200
	v_add_u32_e32 v17, 0xe9f8cc1d, v4
	v_lshl_add_u32 v4, v4, 9, v18
	v_xor_b32_e32 v4, v17, v4
	v_lshlrev_b32_e32 v17, 3, v4
	s_mov_b32 s10, 0xfd7046c5
	v_add3_u32 v4, v4, v17, s10
	v_xor_b32_sdwa v4, v4, v4 dst_sel:DWORD dst_unused:UNUSED_PAD src0_sel:DWORD src1_sel:WORD_1
	v_xor_b32_e32 v4, 0xb55a4f09, v4
	v_mul_hi_u32 v17, v4, 3
	s_brev_b32 s10, -2
	s_movk_i32 s14, 0x2710
	s_mov_b32 s15, 0xbc8f1391
	v_sub_u32_e32 v18, v4, v17
	v_lshrrev_b32_e32 v18, 1, v18
	v_add_u32_e32 v17, v18, v17
	v_lshrrev_b32_e32 v17, 30, v17
	v_mul_lo_u32 v18, v17, s10
	v_mov_b32_e32 v17, 0
	s_mov_b32 s16, 0xbc8f
	s_brev_b32 s17, 12
	v_sub_u32_e32 v4, v4, v18
	v_max_u32_e32 v18, 1, v4
	s_mov_b32 s18, 0xf800000
	v_mov_b32_e32 v4, 0x260
.LBB31_270:                             ; =>This Inner Loop Header: Depth=1
	v_mul_hi_u32 v19, v18, s15
	s_add_i32 s14, s14, -2
	s_cmp_lg_u32 s14, 0
	v_lshrrev_b32_e32 v19, 15, v19
	v_mul_u32_u24_e32 v20, 0xadc8, v19
	v_sub_u32_e32 v18, v18, v20
	v_mul_lo_u32 v18, v18, s16
	v_mul_u32_u24_e32 v19, 0xd47, v19
	v_xor_b32_e32 v20, 0x7fffffff, v19
	v_cmp_lt_u32_e32 vcc, v18, v19
	v_sub_u32_e32 v19, 0, v19
	v_cndmask_b32_e32 v19, v19, v20, vcc
	v_add_u32_e32 v18, v19, v18
	v_mul_hi_u32 v20, v18, s15
	v_add_u32_e32 v19, -1, v18
	v_cvt_f32_u32_e32 v19, v19
	v_lshrrev_b32_e32 v20, 15, v20
	v_mul_u32_u24_e32 v21, 0xadc8, v20
	v_sub_u32_e32 v18, v18, v21
	v_mul_lo_u32 v18, v18, s16
	v_mul_u32_u24_e32 v20, 0xd47, v20
	v_xor_b32_e32 v21, 0x7fffffff, v20
	v_fma_f32 v19, v19, s17, 0
	v_cmp_lt_u32_e32 vcc, v18, v20
	v_sub_u32_e32 v20, 0, v20
	v_cndmask_b32_e32 v20, v20, v21, vcc
	v_add_u32_e32 v18, v20, v18
	v_add_u32_e32 v20, -1, v18
	v_cvt_f32_u32_e32 v20, v20
	v_fma_f32 v20, v20, s17, 0
	v_mul_f32_e32 v20, v20, v20
	v_fmac_f32_e32 v20, v19, v19
	v_cmp_gt_f32_e32 vcc, s18, v20
	v_mul_f32_e32 v19, 0x4f800000, v20
	v_cndmask_b32_e32 v19, v20, v19, vcc
	v_sqrt_f32_e32 v20, v19
	v_add_u32_e32 v21, -1, v20
	v_fma_f32 v22, -v21, v20, v19
	v_cmp_ge_f32_e64 s[10:11], 0, v22
	v_add_u32_e32 v22, 1, v20
	v_cndmask_b32_e64 v21, v20, v21, s[10:11]
	v_fma_f32 v20, -v22, v20, v19
	v_cmp_lt_f32_e64 s[10:11], 0, v20
	v_cndmask_b32_e64 v20, v21, v22, s[10:11]
	v_mul_f32_e32 v21, 0x37800000, v20
	v_cndmask_b32_e32 v20, v20, v21, vcc
	v_cmp_class_f32_e32 vcc, v19, v4
	v_cndmask_b32_e32 v19, v20, v19, vcc
	v_cmp_nge_f32_e32 vcc, 1.0, v19
	v_add_f32_e32 v19, 1.0, v17
	v_cndmask_b32_e32 v17, v19, v17, vcc
	v_mul_hi_u32 v19, v18, s15
	v_lshrrev_b32_e32 v19, 15, v19
	v_mul_u32_u24_e32 v20, 0xadc8, v19
	v_sub_u32_e32 v18, v18, v20
	v_mul_lo_u32 v18, v18, s16
	v_mul_u32_u24_e32 v19, 0xd47, v19
	v_xor_b32_e32 v20, 0x7fffffff, v19
	v_cmp_lt_u32_e32 vcc, v18, v19
	v_sub_u32_e32 v19, 0, v19
	v_cndmask_b32_e32 v19, v19, v20, vcc
	v_add_u32_e32 v18, v19, v18
	v_mul_hi_u32 v20, v18, s15
	v_add_u32_e32 v19, -1, v18
	v_cvt_f32_u32_e32 v19, v19
	v_lshrrev_b32_e32 v20, 15, v20
	v_mul_u32_u24_e32 v21, 0xadc8, v20
	v_sub_u32_e32 v18, v18, v21
	v_mul_lo_u32 v18, v18, s16
	v_mul_u32_u24_e32 v20, 0xd47, v20
	v_xor_b32_e32 v21, 0x7fffffff, v20
	v_fma_f32 v19, v19, s17, 0
	v_cmp_lt_u32_e32 vcc, v18, v20
	v_sub_u32_e32 v20, 0, v20
	v_cndmask_b32_e32 v20, v20, v21, vcc
	v_add_u32_e32 v18, v20, v18
	v_add_u32_e32 v20, -1, v18
	v_cvt_f32_u32_e32 v20, v20
	v_fma_f32 v20, v20, s17, 0
	v_mul_f32_e32 v20, v20, v20
	v_fmac_f32_e32 v20, v19, v19
	v_cmp_gt_f32_e32 vcc, s18, v20
	v_mul_f32_e32 v19, 0x4f800000, v20
	v_cndmask_b32_e32 v19, v20, v19, vcc
	v_sqrt_f32_e32 v20, v19
	v_add_u32_e32 v21, -1, v20
	v_fma_f32 v22, -v21, v20, v19
	v_cmp_ge_f32_e64 s[10:11], 0, v22
	v_add_u32_e32 v22, 1, v20
	v_cndmask_b32_e64 v21, v20, v21, s[10:11]
	v_fma_f32 v20, -v22, v20, v19
	v_cmp_lt_f32_e64 s[10:11], 0, v20
	v_cndmask_b32_e64 v20, v21, v22, s[10:11]
	v_mul_f32_e32 v21, 0x37800000, v20
	v_cndmask_b32_e32 v20, v20, v21, vcc
	v_cmp_class_f32_e32 vcc, v19, v4
	v_cndmask_b32_e32 v19, v20, v19, vcc
	v_cmp_nge_f32_e32 vcc, 1.0, v19
	v_add_f32_e32 v19, 1.0, v17
	v_cndmask_b32_e32 v17, v19, v17, vcc
	s_cbranch_scc1 .LBB31_270
; %bb.271:
	v_mul_f32_e32 v4, 4.0, v17
	s_mov_b32 s14, 0x461c4000
	v_div_scale_f32 v17, s[10:11], s14, s14, v4
	v_div_scale_f32 v18, vcc, v4, s14, v4
	v_rcp_f32_e32 v19, v17
	v_fma_f32 v20, -v17, v19, 1.0
	v_fmac_f32_e32 v19, v20, v19
	v_mul_f32_e32 v20, v18, v19
	v_fma_f32 v21, -v17, v20, v18
	v_fmac_f32_e32 v20, v21, v19
	v_fma_f32 v17, -v17, v20, v18
	v_div_fmas_f32 v17, v17, v19, v20
	v_div_fixup_f32 v4, v17, s14, v4
.LBB31_272:
	s_or_b64 exec, exec, s[12:13]
	v_or_b32_e32 v17, 0x400, v0
	v_cmp_gt_u32_e64 s[10:11], s40, v17
	s_and_saveexec_b64 s[14:15], s[10:11]
	s_cbranch_execz .LBB31_276
; %bb.273:
	v_add_u32_e32 v5, s33, v17
	v_lshlrev_b32_e32 v17, 12, v5
	s_mov_b32 s12, 0x7ed55d16
	v_add3_u32 v5, v5, v17, s12
	v_lshrrev_b32_e32 v17, 19, v5
	v_xor_b32_e32 v5, v5, v17
	v_xor_b32_e32 v5, 0xc761c23c, v5
	v_lshl_add_u32 v5, v5, 5, v5
	v_mov_b32_e32 v18, 0xaccf6200
	v_add_u32_e32 v17, 0xe9f8cc1d, v5
	v_lshl_add_u32 v5, v5, 9, v18
	v_xor_b32_e32 v5, v17, v5
	v_lshlrev_b32_e32 v17, 3, v5
	s_mov_b32 s12, 0xfd7046c5
	v_add3_u32 v5, v5, v17, s12
	v_xor_b32_sdwa v5, v5, v5 dst_sel:DWORD dst_unused:UNUSED_PAD src0_sel:DWORD src1_sel:WORD_1
	v_xor_b32_e32 v5, 0xb55a4f09, v5
	v_mul_hi_u32 v17, v5, 3
	s_brev_b32 s12, -2
	s_movk_i32 s16, 0x2710
	s_mov_b32 s17, 0xbc8f1391
	v_sub_u32_e32 v18, v5, v17
	v_lshrrev_b32_e32 v18, 1, v18
	v_add_u32_e32 v17, v18, v17
	v_lshrrev_b32_e32 v17, 30, v17
	v_mul_lo_u32 v18, v17, s12
	v_mov_b32_e32 v17, 0
	s_mov_b32 s18, 0xbc8f
	s_brev_b32 s19, 12
	v_sub_u32_e32 v5, v5, v18
	v_max_u32_e32 v18, 1, v5
	s_mov_b32 s20, 0xf800000
	v_mov_b32_e32 v5, 0x260
.LBB31_274:                             ; =>This Inner Loop Header: Depth=1
	v_mul_hi_u32 v19, v18, s17
	s_add_i32 s16, s16, -2
	s_cmp_lg_u32 s16, 0
	v_lshrrev_b32_e32 v19, 15, v19
	v_mul_u32_u24_e32 v20, 0xadc8, v19
	v_sub_u32_e32 v18, v18, v20
	v_mul_lo_u32 v18, v18, s18
	v_mul_u32_u24_e32 v19, 0xd47, v19
	v_xor_b32_e32 v20, 0x7fffffff, v19
	v_cmp_lt_u32_e32 vcc, v18, v19
	v_sub_u32_e32 v19, 0, v19
	v_cndmask_b32_e32 v19, v19, v20, vcc
	v_add_u32_e32 v18, v19, v18
	v_mul_hi_u32 v20, v18, s17
	v_add_u32_e32 v19, -1, v18
	v_cvt_f32_u32_e32 v19, v19
	v_lshrrev_b32_e32 v20, 15, v20
	v_mul_u32_u24_e32 v21, 0xadc8, v20
	v_sub_u32_e32 v18, v18, v21
	v_mul_lo_u32 v18, v18, s18
	v_mul_u32_u24_e32 v20, 0xd47, v20
	v_xor_b32_e32 v21, 0x7fffffff, v20
	v_fma_f32 v19, v19, s19, 0
	v_cmp_lt_u32_e32 vcc, v18, v20
	v_sub_u32_e32 v20, 0, v20
	v_cndmask_b32_e32 v20, v20, v21, vcc
	v_add_u32_e32 v18, v20, v18
	v_add_u32_e32 v20, -1, v18
	v_cvt_f32_u32_e32 v20, v20
	v_fma_f32 v20, v20, s19, 0
	v_mul_f32_e32 v20, v20, v20
	v_fmac_f32_e32 v20, v19, v19
	v_cmp_gt_f32_e32 vcc, s20, v20
	v_mul_f32_e32 v19, 0x4f800000, v20
	v_cndmask_b32_e32 v19, v20, v19, vcc
	v_sqrt_f32_e32 v20, v19
	v_add_u32_e32 v21, -1, v20
	v_fma_f32 v22, -v21, v20, v19
	v_cmp_ge_f32_e64 s[12:13], 0, v22
	v_add_u32_e32 v22, 1, v20
	v_cndmask_b32_e64 v21, v20, v21, s[12:13]
	v_fma_f32 v20, -v22, v20, v19
	v_cmp_lt_f32_e64 s[12:13], 0, v20
	v_cndmask_b32_e64 v20, v21, v22, s[12:13]
	v_mul_f32_e32 v21, 0x37800000, v20
	v_cndmask_b32_e32 v20, v20, v21, vcc
	v_cmp_class_f32_e32 vcc, v19, v5
	v_cndmask_b32_e32 v19, v20, v19, vcc
	v_cmp_nge_f32_e32 vcc, 1.0, v19
	v_add_f32_e32 v19, 1.0, v17
	v_cndmask_b32_e32 v17, v19, v17, vcc
	v_mul_hi_u32 v19, v18, s17
	v_lshrrev_b32_e32 v19, 15, v19
	v_mul_u32_u24_e32 v20, 0xadc8, v19
	v_sub_u32_e32 v18, v18, v20
	v_mul_lo_u32 v18, v18, s18
	v_mul_u32_u24_e32 v19, 0xd47, v19
	v_xor_b32_e32 v20, 0x7fffffff, v19
	v_cmp_lt_u32_e32 vcc, v18, v19
	v_sub_u32_e32 v19, 0, v19
	v_cndmask_b32_e32 v19, v19, v20, vcc
	v_add_u32_e32 v18, v19, v18
	v_mul_hi_u32 v20, v18, s17
	v_add_u32_e32 v19, -1, v18
	v_cvt_f32_u32_e32 v19, v19
	v_lshrrev_b32_e32 v20, 15, v20
	v_mul_u32_u24_e32 v21, 0xadc8, v20
	v_sub_u32_e32 v18, v18, v21
	v_mul_lo_u32 v18, v18, s18
	v_mul_u32_u24_e32 v20, 0xd47, v20
	v_xor_b32_e32 v21, 0x7fffffff, v20
	v_fma_f32 v19, v19, s19, 0
	v_cmp_lt_u32_e32 vcc, v18, v20
	v_sub_u32_e32 v20, 0, v20
	v_cndmask_b32_e32 v20, v20, v21, vcc
	v_add_u32_e32 v18, v20, v18
	v_add_u32_e32 v20, -1, v18
	v_cvt_f32_u32_e32 v20, v20
	v_fma_f32 v20, v20, s19, 0
	v_mul_f32_e32 v20, v20, v20
	v_fmac_f32_e32 v20, v19, v19
	v_cmp_gt_f32_e32 vcc, s20, v20
	v_mul_f32_e32 v19, 0x4f800000, v20
	v_cndmask_b32_e32 v19, v20, v19, vcc
	v_sqrt_f32_e32 v20, v19
	v_add_u32_e32 v21, -1, v20
	v_fma_f32 v22, -v21, v20, v19
	v_cmp_ge_f32_e64 s[12:13], 0, v22
	v_add_u32_e32 v22, 1, v20
	v_cndmask_b32_e64 v21, v20, v21, s[12:13]
	v_fma_f32 v20, -v22, v20, v19
	v_cmp_lt_f32_e64 s[12:13], 0, v20
	v_cndmask_b32_e64 v20, v21, v22, s[12:13]
	v_mul_f32_e32 v21, 0x37800000, v20
	v_cndmask_b32_e32 v20, v20, v21, vcc
	v_cmp_class_f32_e32 vcc, v19, v5
	v_cndmask_b32_e32 v19, v20, v19, vcc
	v_cmp_nge_f32_e32 vcc, 1.0, v19
	v_add_f32_e32 v19, 1.0, v17
	v_cndmask_b32_e32 v17, v19, v17, vcc
	s_cbranch_scc1 .LBB31_274
; %bb.275:
	v_mul_f32_e32 v5, 4.0, v17
	s_mov_b32 s16, 0x461c4000
	v_div_scale_f32 v17, s[12:13], s16, s16, v5
	v_div_scale_f32 v18, vcc, v5, s16, v5
	v_rcp_f32_e32 v19, v17
	v_fma_f32 v20, -v17, v19, 1.0
	v_fmac_f32_e32 v19, v20, v19
	v_mul_f32_e32 v20, v18, v19
	v_fma_f32 v21, -v17, v20, v18
	v_fmac_f32_e32 v20, v21, v19
	v_fma_f32 v17, -v17, v20, v18
	v_div_fmas_f32 v17, v17, v19, v20
	v_div_fixup_f32 v5, v17, s16, v5
.LBB31_276:
	s_or_b64 exec, exec, s[14:15]
	v_or_b32_e32 v17, 0x500, v0
	v_cmp_gt_u32_e64 s[12:13], s40, v17
	s_and_saveexec_b64 s[16:17], s[12:13]
	s_cbranch_execz .LBB31_280
; %bb.277:
	v_add_u32_e32 v6, s33, v17
	v_lshlrev_b32_e32 v17, 12, v6
	s_mov_b32 s14, 0x7ed55d16
	v_add3_u32 v6, v6, v17, s14
	v_lshrrev_b32_e32 v17, 19, v6
	v_xor_b32_e32 v6, v6, v17
	v_xor_b32_e32 v6, 0xc761c23c, v6
	v_lshl_add_u32 v6, v6, 5, v6
	v_mov_b32_e32 v18, 0xaccf6200
	v_add_u32_e32 v17, 0xe9f8cc1d, v6
	v_lshl_add_u32 v6, v6, 9, v18
	v_xor_b32_e32 v6, v17, v6
	v_lshlrev_b32_e32 v17, 3, v6
	s_mov_b32 s14, 0xfd7046c5
	v_add3_u32 v6, v6, v17, s14
	v_xor_b32_sdwa v6, v6, v6 dst_sel:DWORD dst_unused:UNUSED_PAD src0_sel:DWORD src1_sel:WORD_1
	v_xor_b32_e32 v6, 0xb55a4f09, v6
	v_mul_hi_u32 v17, v6, 3
	s_brev_b32 s14, -2
	s_movk_i32 s18, 0x2710
	s_mov_b32 s19, 0xbc8f1391
	v_sub_u32_e32 v18, v6, v17
	v_lshrrev_b32_e32 v18, 1, v18
	v_add_u32_e32 v17, v18, v17
	v_lshrrev_b32_e32 v17, 30, v17
	v_mul_lo_u32 v18, v17, s14
	v_mov_b32_e32 v17, 0
	s_mov_b32 s20, 0xbc8f
	s_brev_b32 s21, 12
	v_sub_u32_e32 v6, v6, v18
	v_max_u32_e32 v18, 1, v6
	s_mov_b32 s22, 0xf800000
	v_mov_b32_e32 v6, 0x260
.LBB31_278:                             ; =>This Inner Loop Header: Depth=1
	v_mul_hi_u32 v19, v18, s19
	s_add_i32 s18, s18, -2
	s_cmp_lg_u32 s18, 0
	v_lshrrev_b32_e32 v19, 15, v19
	v_mul_u32_u24_e32 v20, 0xadc8, v19
	v_sub_u32_e32 v18, v18, v20
	v_mul_lo_u32 v18, v18, s20
	v_mul_u32_u24_e32 v19, 0xd47, v19
	v_xor_b32_e32 v20, 0x7fffffff, v19
	v_cmp_lt_u32_e32 vcc, v18, v19
	v_sub_u32_e32 v19, 0, v19
	v_cndmask_b32_e32 v19, v19, v20, vcc
	v_add_u32_e32 v18, v19, v18
	v_mul_hi_u32 v20, v18, s19
	v_add_u32_e32 v19, -1, v18
	v_cvt_f32_u32_e32 v19, v19
	v_lshrrev_b32_e32 v20, 15, v20
	v_mul_u32_u24_e32 v21, 0xadc8, v20
	v_sub_u32_e32 v18, v18, v21
	v_mul_lo_u32 v18, v18, s20
	v_mul_u32_u24_e32 v20, 0xd47, v20
	v_xor_b32_e32 v21, 0x7fffffff, v20
	v_fma_f32 v19, v19, s21, 0
	v_cmp_lt_u32_e32 vcc, v18, v20
	v_sub_u32_e32 v20, 0, v20
	v_cndmask_b32_e32 v20, v20, v21, vcc
	v_add_u32_e32 v18, v20, v18
	v_add_u32_e32 v20, -1, v18
	v_cvt_f32_u32_e32 v20, v20
	v_fma_f32 v20, v20, s21, 0
	v_mul_f32_e32 v20, v20, v20
	v_fmac_f32_e32 v20, v19, v19
	v_cmp_gt_f32_e32 vcc, s22, v20
	v_mul_f32_e32 v19, 0x4f800000, v20
	v_cndmask_b32_e32 v19, v20, v19, vcc
	v_sqrt_f32_e32 v20, v19
	v_add_u32_e32 v21, -1, v20
	v_fma_f32 v22, -v21, v20, v19
	v_cmp_ge_f32_e64 s[14:15], 0, v22
	v_add_u32_e32 v22, 1, v20
	v_cndmask_b32_e64 v21, v20, v21, s[14:15]
	v_fma_f32 v20, -v22, v20, v19
	v_cmp_lt_f32_e64 s[14:15], 0, v20
	v_cndmask_b32_e64 v20, v21, v22, s[14:15]
	v_mul_f32_e32 v21, 0x37800000, v20
	v_cndmask_b32_e32 v20, v20, v21, vcc
	v_cmp_class_f32_e32 vcc, v19, v6
	v_cndmask_b32_e32 v19, v20, v19, vcc
	v_cmp_nge_f32_e32 vcc, 1.0, v19
	v_add_f32_e32 v19, 1.0, v17
	v_cndmask_b32_e32 v17, v19, v17, vcc
	v_mul_hi_u32 v19, v18, s19
	v_lshrrev_b32_e32 v19, 15, v19
	v_mul_u32_u24_e32 v20, 0xadc8, v19
	v_sub_u32_e32 v18, v18, v20
	v_mul_lo_u32 v18, v18, s20
	v_mul_u32_u24_e32 v19, 0xd47, v19
	v_xor_b32_e32 v20, 0x7fffffff, v19
	v_cmp_lt_u32_e32 vcc, v18, v19
	v_sub_u32_e32 v19, 0, v19
	v_cndmask_b32_e32 v19, v19, v20, vcc
	v_add_u32_e32 v18, v19, v18
	v_mul_hi_u32 v20, v18, s19
	v_add_u32_e32 v19, -1, v18
	v_cvt_f32_u32_e32 v19, v19
	v_lshrrev_b32_e32 v20, 15, v20
	v_mul_u32_u24_e32 v21, 0xadc8, v20
	v_sub_u32_e32 v18, v18, v21
	v_mul_lo_u32 v18, v18, s20
	v_mul_u32_u24_e32 v20, 0xd47, v20
	v_xor_b32_e32 v21, 0x7fffffff, v20
	v_fma_f32 v19, v19, s21, 0
	v_cmp_lt_u32_e32 vcc, v18, v20
	v_sub_u32_e32 v20, 0, v20
	v_cndmask_b32_e32 v20, v20, v21, vcc
	v_add_u32_e32 v18, v20, v18
	v_add_u32_e32 v20, -1, v18
	v_cvt_f32_u32_e32 v20, v20
	v_fma_f32 v20, v20, s21, 0
	v_mul_f32_e32 v20, v20, v20
	v_fmac_f32_e32 v20, v19, v19
	v_cmp_gt_f32_e32 vcc, s22, v20
	v_mul_f32_e32 v19, 0x4f800000, v20
	v_cndmask_b32_e32 v19, v20, v19, vcc
	v_sqrt_f32_e32 v20, v19
	v_add_u32_e32 v21, -1, v20
	v_fma_f32 v22, -v21, v20, v19
	v_cmp_ge_f32_e64 s[14:15], 0, v22
	v_add_u32_e32 v22, 1, v20
	v_cndmask_b32_e64 v21, v20, v21, s[14:15]
	v_fma_f32 v20, -v22, v20, v19
	v_cmp_lt_f32_e64 s[14:15], 0, v20
	v_cndmask_b32_e64 v20, v21, v22, s[14:15]
	v_mul_f32_e32 v21, 0x37800000, v20
	v_cndmask_b32_e32 v20, v20, v21, vcc
	v_cmp_class_f32_e32 vcc, v19, v6
	v_cndmask_b32_e32 v19, v20, v19, vcc
	v_cmp_nge_f32_e32 vcc, 1.0, v19
	v_add_f32_e32 v19, 1.0, v17
	v_cndmask_b32_e32 v17, v19, v17, vcc
	s_cbranch_scc1 .LBB31_278
; %bb.279:
	v_mul_f32_e32 v6, 4.0, v17
	s_mov_b32 s18, 0x461c4000
	v_div_scale_f32 v17, s[14:15], s18, s18, v6
	v_div_scale_f32 v18, vcc, v6, s18, v6
	v_rcp_f32_e32 v19, v17
	v_fma_f32 v20, -v17, v19, 1.0
	v_fmac_f32_e32 v19, v20, v19
	v_mul_f32_e32 v20, v18, v19
	v_fma_f32 v21, -v17, v20, v18
	v_fmac_f32_e32 v20, v21, v19
	v_fma_f32 v17, -v17, v20, v18
	v_div_fmas_f32 v17, v17, v19, v20
	v_div_fixup_f32 v6, v17, s18, v6
.LBB31_280:
	s_or_b64 exec, exec, s[16:17]
	v_or_b32_e32 v17, 0x600, v0
	v_cmp_gt_u32_e64 s[14:15], s40, v17
	s_and_saveexec_b64 s[18:19], s[14:15]
	s_cbranch_execz .LBB31_284
; %bb.281:
	v_add_u32_e32 v7, s33, v17
	v_lshlrev_b32_e32 v17, 12, v7
	s_mov_b32 s16, 0x7ed55d16
	v_add3_u32 v7, v7, v17, s16
	v_lshrrev_b32_e32 v17, 19, v7
	v_xor_b32_e32 v7, v7, v17
	v_xor_b32_e32 v7, 0xc761c23c, v7
	v_lshl_add_u32 v7, v7, 5, v7
	v_mov_b32_e32 v18, 0xaccf6200
	v_add_u32_e32 v17, 0xe9f8cc1d, v7
	v_lshl_add_u32 v7, v7, 9, v18
	v_xor_b32_e32 v7, v17, v7
	v_lshlrev_b32_e32 v17, 3, v7
	s_mov_b32 s16, 0xfd7046c5
	v_add3_u32 v7, v7, v17, s16
	v_xor_b32_sdwa v7, v7, v7 dst_sel:DWORD dst_unused:UNUSED_PAD src0_sel:DWORD src1_sel:WORD_1
	v_xor_b32_e32 v7, 0xb55a4f09, v7
	v_mul_hi_u32 v17, v7, 3
	s_brev_b32 s16, -2
	s_movk_i32 s20, 0x2710
	s_mov_b32 s21, 0xbc8f1391
	v_sub_u32_e32 v18, v7, v17
	v_lshrrev_b32_e32 v18, 1, v18
	v_add_u32_e32 v17, v18, v17
	v_lshrrev_b32_e32 v17, 30, v17
	v_mul_lo_u32 v18, v17, s16
	v_mov_b32_e32 v17, 0
	s_mov_b32 s22, 0xbc8f
	s_brev_b32 s23, 12
	v_sub_u32_e32 v7, v7, v18
	v_max_u32_e32 v18, 1, v7
	s_mov_b32 s24, 0xf800000
	v_mov_b32_e32 v7, 0x260
.LBB31_282:                             ; =>This Inner Loop Header: Depth=1
	v_mul_hi_u32 v19, v18, s21
	s_add_i32 s20, s20, -2
	s_cmp_lg_u32 s20, 0
	v_lshrrev_b32_e32 v19, 15, v19
	v_mul_u32_u24_e32 v20, 0xadc8, v19
	v_sub_u32_e32 v18, v18, v20
	v_mul_lo_u32 v18, v18, s22
	v_mul_u32_u24_e32 v19, 0xd47, v19
	v_xor_b32_e32 v20, 0x7fffffff, v19
	v_cmp_lt_u32_e32 vcc, v18, v19
	v_sub_u32_e32 v19, 0, v19
	v_cndmask_b32_e32 v19, v19, v20, vcc
	v_add_u32_e32 v18, v19, v18
	v_mul_hi_u32 v20, v18, s21
	v_add_u32_e32 v19, -1, v18
	v_cvt_f32_u32_e32 v19, v19
	v_lshrrev_b32_e32 v20, 15, v20
	v_mul_u32_u24_e32 v21, 0xadc8, v20
	v_sub_u32_e32 v18, v18, v21
	v_mul_lo_u32 v18, v18, s22
	v_mul_u32_u24_e32 v20, 0xd47, v20
	v_xor_b32_e32 v21, 0x7fffffff, v20
	v_fma_f32 v19, v19, s23, 0
	v_cmp_lt_u32_e32 vcc, v18, v20
	v_sub_u32_e32 v20, 0, v20
	v_cndmask_b32_e32 v20, v20, v21, vcc
	v_add_u32_e32 v18, v20, v18
	v_add_u32_e32 v20, -1, v18
	v_cvt_f32_u32_e32 v20, v20
	v_fma_f32 v20, v20, s23, 0
	v_mul_f32_e32 v20, v20, v20
	v_fmac_f32_e32 v20, v19, v19
	v_cmp_gt_f32_e32 vcc, s24, v20
	v_mul_f32_e32 v19, 0x4f800000, v20
	v_cndmask_b32_e32 v19, v20, v19, vcc
	v_sqrt_f32_e32 v20, v19
	v_add_u32_e32 v21, -1, v20
	v_fma_f32 v22, -v21, v20, v19
	v_cmp_ge_f32_e64 s[16:17], 0, v22
	v_add_u32_e32 v22, 1, v20
	v_cndmask_b32_e64 v21, v20, v21, s[16:17]
	v_fma_f32 v20, -v22, v20, v19
	v_cmp_lt_f32_e64 s[16:17], 0, v20
	v_cndmask_b32_e64 v20, v21, v22, s[16:17]
	v_mul_f32_e32 v21, 0x37800000, v20
	v_cndmask_b32_e32 v20, v20, v21, vcc
	v_cmp_class_f32_e32 vcc, v19, v7
	v_cndmask_b32_e32 v19, v20, v19, vcc
	v_cmp_nge_f32_e32 vcc, 1.0, v19
	v_add_f32_e32 v19, 1.0, v17
	v_cndmask_b32_e32 v17, v19, v17, vcc
	v_mul_hi_u32 v19, v18, s21
	v_lshrrev_b32_e32 v19, 15, v19
	v_mul_u32_u24_e32 v20, 0xadc8, v19
	v_sub_u32_e32 v18, v18, v20
	v_mul_lo_u32 v18, v18, s22
	v_mul_u32_u24_e32 v19, 0xd47, v19
	v_xor_b32_e32 v20, 0x7fffffff, v19
	v_cmp_lt_u32_e32 vcc, v18, v19
	v_sub_u32_e32 v19, 0, v19
	v_cndmask_b32_e32 v19, v19, v20, vcc
	v_add_u32_e32 v18, v19, v18
	v_mul_hi_u32 v20, v18, s21
	v_add_u32_e32 v19, -1, v18
	v_cvt_f32_u32_e32 v19, v19
	v_lshrrev_b32_e32 v20, 15, v20
	v_mul_u32_u24_e32 v21, 0xadc8, v20
	v_sub_u32_e32 v18, v18, v21
	v_mul_lo_u32 v18, v18, s22
	v_mul_u32_u24_e32 v20, 0xd47, v20
	v_xor_b32_e32 v21, 0x7fffffff, v20
	v_fma_f32 v19, v19, s23, 0
	v_cmp_lt_u32_e32 vcc, v18, v20
	v_sub_u32_e32 v20, 0, v20
	v_cndmask_b32_e32 v20, v20, v21, vcc
	v_add_u32_e32 v18, v20, v18
	v_add_u32_e32 v20, -1, v18
	v_cvt_f32_u32_e32 v20, v20
	v_fma_f32 v20, v20, s23, 0
	v_mul_f32_e32 v20, v20, v20
	v_fmac_f32_e32 v20, v19, v19
	v_cmp_gt_f32_e32 vcc, s24, v20
	v_mul_f32_e32 v19, 0x4f800000, v20
	v_cndmask_b32_e32 v19, v20, v19, vcc
	v_sqrt_f32_e32 v20, v19
	v_add_u32_e32 v21, -1, v20
	v_fma_f32 v22, -v21, v20, v19
	v_cmp_ge_f32_e64 s[16:17], 0, v22
	v_add_u32_e32 v22, 1, v20
	v_cndmask_b32_e64 v21, v20, v21, s[16:17]
	v_fma_f32 v20, -v22, v20, v19
	v_cmp_lt_f32_e64 s[16:17], 0, v20
	v_cndmask_b32_e64 v20, v21, v22, s[16:17]
	v_mul_f32_e32 v21, 0x37800000, v20
	v_cndmask_b32_e32 v20, v20, v21, vcc
	v_cmp_class_f32_e32 vcc, v19, v7
	v_cndmask_b32_e32 v19, v20, v19, vcc
	v_cmp_nge_f32_e32 vcc, 1.0, v19
	v_add_f32_e32 v19, 1.0, v17
	v_cndmask_b32_e32 v17, v19, v17, vcc
	s_cbranch_scc1 .LBB31_282
; %bb.283:
	v_mul_f32_e32 v7, 4.0, v17
	s_mov_b32 s20, 0x461c4000
	v_div_scale_f32 v17, s[16:17], s20, s20, v7
	v_div_scale_f32 v18, vcc, v7, s20, v7
	v_rcp_f32_e32 v19, v17
	v_fma_f32 v20, -v17, v19, 1.0
	v_fmac_f32_e32 v19, v20, v19
	v_mul_f32_e32 v20, v18, v19
	v_fma_f32 v21, -v17, v20, v18
	v_fmac_f32_e32 v20, v21, v19
	v_fma_f32 v17, -v17, v20, v18
	v_div_fmas_f32 v17, v17, v19, v20
	v_div_fixup_f32 v7, v17, s20, v7
.LBB31_284:
	s_or_b64 exec, exec, s[18:19]
	v_or_b32_e32 v17, 0x700, v0
	v_cmp_gt_u32_e64 s[16:17], s40, v17
	s_and_saveexec_b64 s[20:21], s[16:17]
	s_cbranch_execz .LBB31_288
; %bb.285:
	v_add_u32_e32 v8, s33, v17
	v_lshlrev_b32_e32 v17, 12, v8
	s_mov_b32 s18, 0x7ed55d16
	v_add3_u32 v8, v8, v17, s18
	v_lshrrev_b32_e32 v17, 19, v8
	v_xor_b32_e32 v8, v8, v17
	v_xor_b32_e32 v8, 0xc761c23c, v8
	v_lshl_add_u32 v8, v8, 5, v8
	v_mov_b32_e32 v18, 0xaccf6200
	v_add_u32_e32 v17, 0xe9f8cc1d, v8
	v_lshl_add_u32 v8, v8, 9, v18
	v_xor_b32_e32 v8, v17, v8
	v_lshlrev_b32_e32 v17, 3, v8
	s_mov_b32 s18, 0xfd7046c5
	v_add3_u32 v8, v8, v17, s18
	v_xor_b32_sdwa v8, v8, v8 dst_sel:DWORD dst_unused:UNUSED_PAD src0_sel:DWORD src1_sel:WORD_1
	v_xor_b32_e32 v8, 0xb55a4f09, v8
	v_mul_hi_u32 v17, v8, 3
	s_brev_b32 s18, -2
	s_movk_i32 s22, 0x2710
	s_mov_b32 s23, 0xbc8f1391
	v_sub_u32_e32 v18, v8, v17
	v_lshrrev_b32_e32 v18, 1, v18
	v_add_u32_e32 v17, v18, v17
	v_lshrrev_b32_e32 v17, 30, v17
	v_mul_lo_u32 v18, v17, s18
	v_mov_b32_e32 v17, 0
	s_mov_b32 s24, 0xbc8f
	s_brev_b32 s25, 12
	v_sub_u32_e32 v8, v8, v18
	v_max_u32_e32 v18, 1, v8
	s_mov_b32 s26, 0xf800000
	v_mov_b32_e32 v8, 0x260
.LBB31_286:                             ; =>This Inner Loop Header: Depth=1
	v_mul_hi_u32 v19, v18, s23
	s_add_i32 s22, s22, -2
	s_cmp_lg_u32 s22, 0
	v_lshrrev_b32_e32 v19, 15, v19
	v_mul_u32_u24_e32 v20, 0xadc8, v19
	v_sub_u32_e32 v18, v18, v20
	v_mul_lo_u32 v18, v18, s24
	v_mul_u32_u24_e32 v19, 0xd47, v19
	v_xor_b32_e32 v20, 0x7fffffff, v19
	v_cmp_lt_u32_e32 vcc, v18, v19
	v_sub_u32_e32 v19, 0, v19
	v_cndmask_b32_e32 v19, v19, v20, vcc
	v_add_u32_e32 v18, v19, v18
	v_mul_hi_u32 v20, v18, s23
	v_add_u32_e32 v19, -1, v18
	v_cvt_f32_u32_e32 v19, v19
	v_lshrrev_b32_e32 v20, 15, v20
	v_mul_u32_u24_e32 v21, 0xadc8, v20
	v_sub_u32_e32 v18, v18, v21
	v_mul_lo_u32 v18, v18, s24
	v_mul_u32_u24_e32 v20, 0xd47, v20
	v_xor_b32_e32 v21, 0x7fffffff, v20
	v_fma_f32 v19, v19, s25, 0
	v_cmp_lt_u32_e32 vcc, v18, v20
	v_sub_u32_e32 v20, 0, v20
	v_cndmask_b32_e32 v20, v20, v21, vcc
	v_add_u32_e32 v18, v20, v18
	v_add_u32_e32 v20, -1, v18
	v_cvt_f32_u32_e32 v20, v20
	v_fma_f32 v20, v20, s25, 0
	v_mul_f32_e32 v20, v20, v20
	v_fmac_f32_e32 v20, v19, v19
	v_cmp_gt_f32_e32 vcc, s26, v20
	v_mul_f32_e32 v19, 0x4f800000, v20
	v_cndmask_b32_e32 v19, v20, v19, vcc
	v_sqrt_f32_e32 v20, v19
	v_add_u32_e32 v21, -1, v20
	v_fma_f32 v22, -v21, v20, v19
	v_cmp_ge_f32_e64 s[18:19], 0, v22
	v_add_u32_e32 v22, 1, v20
	v_cndmask_b32_e64 v21, v20, v21, s[18:19]
	v_fma_f32 v20, -v22, v20, v19
	v_cmp_lt_f32_e64 s[18:19], 0, v20
	v_cndmask_b32_e64 v20, v21, v22, s[18:19]
	v_mul_f32_e32 v21, 0x37800000, v20
	v_cndmask_b32_e32 v20, v20, v21, vcc
	v_cmp_class_f32_e32 vcc, v19, v8
	v_cndmask_b32_e32 v19, v20, v19, vcc
	v_cmp_nge_f32_e32 vcc, 1.0, v19
	v_add_f32_e32 v19, 1.0, v17
	v_cndmask_b32_e32 v17, v19, v17, vcc
	v_mul_hi_u32 v19, v18, s23
	v_lshrrev_b32_e32 v19, 15, v19
	v_mul_u32_u24_e32 v20, 0xadc8, v19
	v_sub_u32_e32 v18, v18, v20
	v_mul_lo_u32 v18, v18, s24
	v_mul_u32_u24_e32 v19, 0xd47, v19
	v_xor_b32_e32 v20, 0x7fffffff, v19
	v_cmp_lt_u32_e32 vcc, v18, v19
	v_sub_u32_e32 v19, 0, v19
	v_cndmask_b32_e32 v19, v19, v20, vcc
	v_add_u32_e32 v18, v19, v18
	v_mul_hi_u32 v20, v18, s23
	v_add_u32_e32 v19, -1, v18
	v_cvt_f32_u32_e32 v19, v19
	v_lshrrev_b32_e32 v20, 15, v20
	v_mul_u32_u24_e32 v21, 0xadc8, v20
	v_sub_u32_e32 v18, v18, v21
	v_mul_lo_u32 v18, v18, s24
	v_mul_u32_u24_e32 v20, 0xd47, v20
	v_xor_b32_e32 v21, 0x7fffffff, v20
	v_fma_f32 v19, v19, s25, 0
	v_cmp_lt_u32_e32 vcc, v18, v20
	v_sub_u32_e32 v20, 0, v20
	v_cndmask_b32_e32 v20, v20, v21, vcc
	v_add_u32_e32 v18, v20, v18
	v_add_u32_e32 v20, -1, v18
	v_cvt_f32_u32_e32 v20, v20
	v_fma_f32 v20, v20, s25, 0
	v_mul_f32_e32 v20, v20, v20
	v_fmac_f32_e32 v20, v19, v19
	v_cmp_gt_f32_e32 vcc, s26, v20
	v_mul_f32_e32 v19, 0x4f800000, v20
	v_cndmask_b32_e32 v19, v20, v19, vcc
	v_sqrt_f32_e32 v20, v19
	v_add_u32_e32 v21, -1, v20
	v_fma_f32 v22, -v21, v20, v19
	v_cmp_ge_f32_e64 s[18:19], 0, v22
	v_add_u32_e32 v22, 1, v20
	v_cndmask_b32_e64 v21, v20, v21, s[18:19]
	v_fma_f32 v20, -v22, v20, v19
	v_cmp_lt_f32_e64 s[18:19], 0, v20
	v_cndmask_b32_e64 v20, v21, v22, s[18:19]
	v_mul_f32_e32 v21, 0x37800000, v20
	v_cndmask_b32_e32 v20, v20, v21, vcc
	v_cmp_class_f32_e32 vcc, v19, v8
	v_cndmask_b32_e32 v19, v20, v19, vcc
	v_cmp_nge_f32_e32 vcc, 1.0, v19
	v_add_f32_e32 v19, 1.0, v17
	v_cndmask_b32_e32 v17, v19, v17, vcc
	s_cbranch_scc1 .LBB31_286
; %bb.287:
	v_mul_f32_e32 v8, 4.0, v17
	s_mov_b32 s22, 0x461c4000
	v_div_scale_f32 v17, s[18:19], s22, s22, v8
	v_div_scale_f32 v18, vcc, v8, s22, v8
	v_rcp_f32_e32 v19, v17
	v_fma_f32 v20, -v17, v19, 1.0
	v_fmac_f32_e32 v19, v20, v19
	v_mul_f32_e32 v20, v18, v19
	v_fma_f32 v21, -v17, v20, v18
	v_fmac_f32_e32 v20, v21, v19
	v_fma_f32 v17, -v17, v20, v18
	v_div_fmas_f32 v17, v17, v19, v20
	v_div_fixup_f32 v8, v17, s22, v8
.LBB31_288:
	s_or_b64 exec, exec, s[20:21]
	v_or_b32_e32 v17, 0x800, v0
	v_cmp_gt_u32_e64 s[18:19], s40, v17
	s_and_saveexec_b64 s[22:23], s[18:19]
	s_cbranch_execz .LBB31_292
; %bb.289:
	v_add_u32_e32 v9, s33, v17
	v_lshlrev_b32_e32 v17, 12, v9
	s_mov_b32 s20, 0x7ed55d16
	v_add3_u32 v9, v9, v17, s20
	v_lshrrev_b32_e32 v17, 19, v9
	v_xor_b32_e32 v9, v9, v17
	v_xor_b32_e32 v9, 0xc761c23c, v9
	v_lshl_add_u32 v9, v9, 5, v9
	v_mov_b32_e32 v18, 0xaccf6200
	v_add_u32_e32 v17, 0xe9f8cc1d, v9
	v_lshl_add_u32 v9, v9, 9, v18
	v_xor_b32_e32 v9, v17, v9
	v_lshlrev_b32_e32 v17, 3, v9
	s_mov_b32 s20, 0xfd7046c5
	v_add3_u32 v9, v9, v17, s20
	v_xor_b32_sdwa v9, v9, v9 dst_sel:DWORD dst_unused:UNUSED_PAD src0_sel:DWORD src1_sel:WORD_1
	v_xor_b32_e32 v9, 0xb55a4f09, v9
	v_mul_hi_u32 v17, v9, 3
	s_brev_b32 s20, -2
	s_movk_i32 s24, 0x2710
	s_mov_b32 s25, 0xbc8f1391
	v_sub_u32_e32 v18, v9, v17
	v_lshrrev_b32_e32 v18, 1, v18
	v_add_u32_e32 v17, v18, v17
	v_lshrrev_b32_e32 v17, 30, v17
	v_mul_lo_u32 v18, v17, s20
	v_mov_b32_e32 v17, 0
	s_mov_b32 s26, 0xbc8f
	s_brev_b32 s27, 12
	v_sub_u32_e32 v9, v9, v18
	v_max_u32_e32 v18, 1, v9
	s_mov_b32 s28, 0xf800000
	v_mov_b32_e32 v9, 0x260
.LBB31_290:                             ; =>This Inner Loop Header: Depth=1
	v_mul_hi_u32 v19, v18, s25
	s_add_i32 s24, s24, -2
	s_cmp_lg_u32 s24, 0
	v_lshrrev_b32_e32 v19, 15, v19
	v_mul_u32_u24_e32 v20, 0xadc8, v19
	v_sub_u32_e32 v18, v18, v20
	v_mul_lo_u32 v18, v18, s26
	v_mul_u32_u24_e32 v19, 0xd47, v19
	v_xor_b32_e32 v20, 0x7fffffff, v19
	v_cmp_lt_u32_e32 vcc, v18, v19
	v_sub_u32_e32 v19, 0, v19
	v_cndmask_b32_e32 v19, v19, v20, vcc
	v_add_u32_e32 v18, v19, v18
	v_mul_hi_u32 v20, v18, s25
	v_add_u32_e32 v19, -1, v18
	v_cvt_f32_u32_e32 v19, v19
	v_lshrrev_b32_e32 v20, 15, v20
	v_mul_u32_u24_e32 v21, 0xadc8, v20
	v_sub_u32_e32 v18, v18, v21
	v_mul_lo_u32 v18, v18, s26
	v_mul_u32_u24_e32 v20, 0xd47, v20
	v_xor_b32_e32 v21, 0x7fffffff, v20
	v_fma_f32 v19, v19, s27, 0
	v_cmp_lt_u32_e32 vcc, v18, v20
	v_sub_u32_e32 v20, 0, v20
	v_cndmask_b32_e32 v20, v20, v21, vcc
	v_add_u32_e32 v18, v20, v18
	v_add_u32_e32 v20, -1, v18
	v_cvt_f32_u32_e32 v20, v20
	v_fma_f32 v20, v20, s27, 0
	v_mul_f32_e32 v20, v20, v20
	v_fmac_f32_e32 v20, v19, v19
	v_cmp_gt_f32_e32 vcc, s28, v20
	v_mul_f32_e32 v19, 0x4f800000, v20
	v_cndmask_b32_e32 v19, v20, v19, vcc
	v_sqrt_f32_e32 v20, v19
	v_add_u32_e32 v21, -1, v20
	v_fma_f32 v22, -v21, v20, v19
	v_cmp_ge_f32_e64 s[20:21], 0, v22
	v_add_u32_e32 v22, 1, v20
	v_cndmask_b32_e64 v21, v20, v21, s[20:21]
	v_fma_f32 v20, -v22, v20, v19
	v_cmp_lt_f32_e64 s[20:21], 0, v20
	v_cndmask_b32_e64 v20, v21, v22, s[20:21]
	v_mul_f32_e32 v21, 0x37800000, v20
	v_cndmask_b32_e32 v20, v20, v21, vcc
	v_cmp_class_f32_e32 vcc, v19, v9
	v_cndmask_b32_e32 v19, v20, v19, vcc
	v_cmp_nge_f32_e32 vcc, 1.0, v19
	v_add_f32_e32 v19, 1.0, v17
	v_cndmask_b32_e32 v17, v19, v17, vcc
	v_mul_hi_u32 v19, v18, s25
	v_lshrrev_b32_e32 v19, 15, v19
	v_mul_u32_u24_e32 v20, 0xadc8, v19
	v_sub_u32_e32 v18, v18, v20
	v_mul_lo_u32 v18, v18, s26
	v_mul_u32_u24_e32 v19, 0xd47, v19
	v_xor_b32_e32 v20, 0x7fffffff, v19
	v_cmp_lt_u32_e32 vcc, v18, v19
	v_sub_u32_e32 v19, 0, v19
	v_cndmask_b32_e32 v19, v19, v20, vcc
	v_add_u32_e32 v18, v19, v18
	v_mul_hi_u32 v20, v18, s25
	v_add_u32_e32 v19, -1, v18
	v_cvt_f32_u32_e32 v19, v19
	v_lshrrev_b32_e32 v20, 15, v20
	v_mul_u32_u24_e32 v21, 0xadc8, v20
	v_sub_u32_e32 v18, v18, v21
	v_mul_lo_u32 v18, v18, s26
	v_mul_u32_u24_e32 v20, 0xd47, v20
	v_xor_b32_e32 v21, 0x7fffffff, v20
	v_fma_f32 v19, v19, s27, 0
	v_cmp_lt_u32_e32 vcc, v18, v20
	v_sub_u32_e32 v20, 0, v20
	v_cndmask_b32_e32 v20, v20, v21, vcc
	v_add_u32_e32 v18, v20, v18
	v_add_u32_e32 v20, -1, v18
	v_cvt_f32_u32_e32 v20, v20
	v_fma_f32 v20, v20, s27, 0
	v_mul_f32_e32 v20, v20, v20
	v_fmac_f32_e32 v20, v19, v19
	v_cmp_gt_f32_e32 vcc, s28, v20
	v_mul_f32_e32 v19, 0x4f800000, v20
	v_cndmask_b32_e32 v19, v20, v19, vcc
	v_sqrt_f32_e32 v20, v19
	v_add_u32_e32 v21, -1, v20
	v_fma_f32 v22, -v21, v20, v19
	v_cmp_ge_f32_e64 s[20:21], 0, v22
	v_add_u32_e32 v22, 1, v20
	v_cndmask_b32_e64 v21, v20, v21, s[20:21]
	v_fma_f32 v20, -v22, v20, v19
	v_cmp_lt_f32_e64 s[20:21], 0, v20
	v_cndmask_b32_e64 v20, v21, v22, s[20:21]
	v_mul_f32_e32 v21, 0x37800000, v20
	v_cndmask_b32_e32 v20, v20, v21, vcc
	v_cmp_class_f32_e32 vcc, v19, v9
	v_cndmask_b32_e32 v19, v20, v19, vcc
	v_cmp_nge_f32_e32 vcc, 1.0, v19
	v_add_f32_e32 v19, 1.0, v17
	v_cndmask_b32_e32 v17, v19, v17, vcc
	s_cbranch_scc1 .LBB31_290
; %bb.291:
	v_mul_f32_e32 v9, 4.0, v17
	s_mov_b32 s24, 0x461c4000
	v_div_scale_f32 v17, s[20:21], s24, s24, v9
	v_div_scale_f32 v18, vcc, v9, s24, v9
	v_rcp_f32_e32 v19, v17
	v_fma_f32 v20, -v17, v19, 1.0
	v_fmac_f32_e32 v19, v20, v19
	v_mul_f32_e32 v20, v18, v19
	v_fma_f32 v21, -v17, v20, v18
	v_fmac_f32_e32 v20, v21, v19
	v_fma_f32 v17, -v17, v20, v18
	v_div_fmas_f32 v17, v17, v19, v20
	v_div_fixup_f32 v9, v17, s24, v9
.LBB31_292:
	s_or_b64 exec, exec, s[22:23]
	v_or_b32_e32 v17, 0x900, v0
	v_cmp_gt_u32_e64 s[20:21], s40, v17
	s_and_saveexec_b64 s[24:25], s[20:21]
	s_cbranch_execz .LBB31_296
; %bb.293:
	v_add_u32_e32 v10, s33, v17
	v_lshlrev_b32_e32 v17, 12, v10
	s_mov_b32 s22, 0x7ed55d16
	v_add3_u32 v10, v10, v17, s22
	v_lshrrev_b32_e32 v17, 19, v10
	v_xor_b32_e32 v10, v10, v17
	v_xor_b32_e32 v10, 0xc761c23c, v10
	v_lshl_add_u32 v10, v10, 5, v10
	v_mov_b32_e32 v18, 0xaccf6200
	v_add_u32_e32 v17, 0xe9f8cc1d, v10
	v_lshl_add_u32 v10, v10, 9, v18
	v_xor_b32_e32 v10, v17, v10
	v_lshlrev_b32_e32 v17, 3, v10
	s_mov_b32 s22, 0xfd7046c5
	v_add3_u32 v10, v10, v17, s22
	v_xor_b32_sdwa v10, v10, v10 dst_sel:DWORD dst_unused:UNUSED_PAD src0_sel:DWORD src1_sel:WORD_1
	v_xor_b32_e32 v10, 0xb55a4f09, v10
	v_mul_hi_u32 v17, v10, 3
	s_brev_b32 s22, -2
	s_movk_i32 s26, 0x2710
	s_mov_b32 s27, 0xbc8f1391
	v_sub_u32_e32 v18, v10, v17
	v_lshrrev_b32_e32 v18, 1, v18
	v_add_u32_e32 v17, v18, v17
	v_lshrrev_b32_e32 v17, 30, v17
	v_mul_lo_u32 v18, v17, s22
	v_mov_b32_e32 v17, 0
	s_mov_b32 s28, 0xbc8f
	s_brev_b32 s29, 12
	v_sub_u32_e32 v10, v10, v18
	v_max_u32_e32 v18, 1, v10
	s_mov_b32 s30, 0xf800000
	v_mov_b32_e32 v10, 0x260
.LBB31_294:                             ; =>This Inner Loop Header: Depth=1
	v_mul_hi_u32 v19, v18, s27
	s_add_i32 s26, s26, -2
	s_cmp_lg_u32 s26, 0
	v_lshrrev_b32_e32 v19, 15, v19
	v_mul_u32_u24_e32 v20, 0xadc8, v19
	v_sub_u32_e32 v18, v18, v20
	v_mul_lo_u32 v18, v18, s28
	v_mul_u32_u24_e32 v19, 0xd47, v19
	v_xor_b32_e32 v20, 0x7fffffff, v19
	v_cmp_lt_u32_e32 vcc, v18, v19
	v_sub_u32_e32 v19, 0, v19
	v_cndmask_b32_e32 v19, v19, v20, vcc
	v_add_u32_e32 v18, v19, v18
	v_mul_hi_u32 v20, v18, s27
	v_add_u32_e32 v19, -1, v18
	v_cvt_f32_u32_e32 v19, v19
	v_lshrrev_b32_e32 v20, 15, v20
	v_mul_u32_u24_e32 v21, 0xadc8, v20
	v_sub_u32_e32 v18, v18, v21
	v_mul_lo_u32 v18, v18, s28
	v_mul_u32_u24_e32 v20, 0xd47, v20
	v_xor_b32_e32 v21, 0x7fffffff, v20
	v_fma_f32 v19, v19, s29, 0
	v_cmp_lt_u32_e32 vcc, v18, v20
	v_sub_u32_e32 v20, 0, v20
	v_cndmask_b32_e32 v20, v20, v21, vcc
	v_add_u32_e32 v18, v20, v18
	v_add_u32_e32 v20, -1, v18
	v_cvt_f32_u32_e32 v20, v20
	v_fma_f32 v20, v20, s29, 0
	v_mul_f32_e32 v20, v20, v20
	v_fmac_f32_e32 v20, v19, v19
	v_cmp_gt_f32_e32 vcc, s30, v20
	v_mul_f32_e32 v19, 0x4f800000, v20
	v_cndmask_b32_e32 v19, v20, v19, vcc
	v_sqrt_f32_e32 v20, v19
	v_add_u32_e32 v21, -1, v20
	v_fma_f32 v22, -v21, v20, v19
	v_cmp_ge_f32_e64 s[22:23], 0, v22
	v_add_u32_e32 v22, 1, v20
	v_cndmask_b32_e64 v21, v20, v21, s[22:23]
	v_fma_f32 v20, -v22, v20, v19
	v_cmp_lt_f32_e64 s[22:23], 0, v20
	v_cndmask_b32_e64 v20, v21, v22, s[22:23]
	v_mul_f32_e32 v21, 0x37800000, v20
	v_cndmask_b32_e32 v20, v20, v21, vcc
	v_cmp_class_f32_e32 vcc, v19, v10
	v_cndmask_b32_e32 v19, v20, v19, vcc
	v_cmp_nge_f32_e32 vcc, 1.0, v19
	v_add_f32_e32 v19, 1.0, v17
	v_cndmask_b32_e32 v17, v19, v17, vcc
	v_mul_hi_u32 v19, v18, s27
	v_lshrrev_b32_e32 v19, 15, v19
	v_mul_u32_u24_e32 v20, 0xadc8, v19
	v_sub_u32_e32 v18, v18, v20
	v_mul_lo_u32 v18, v18, s28
	v_mul_u32_u24_e32 v19, 0xd47, v19
	v_xor_b32_e32 v20, 0x7fffffff, v19
	v_cmp_lt_u32_e32 vcc, v18, v19
	v_sub_u32_e32 v19, 0, v19
	v_cndmask_b32_e32 v19, v19, v20, vcc
	v_add_u32_e32 v18, v19, v18
	v_mul_hi_u32 v20, v18, s27
	v_add_u32_e32 v19, -1, v18
	v_cvt_f32_u32_e32 v19, v19
	v_lshrrev_b32_e32 v20, 15, v20
	v_mul_u32_u24_e32 v21, 0xadc8, v20
	v_sub_u32_e32 v18, v18, v21
	v_mul_lo_u32 v18, v18, s28
	v_mul_u32_u24_e32 v20, 0xd47, v20
	v_xor_b32_e32 v21, 0x7fffffff, v20
	v_fma_f32 v19, v19, s29, 0
	v_cmp_lt_u32_e32 vcc, v18, v20
	v_sub_u32_e32 v20, 0, v20
	v_cndmask_b32_e32 v20, v20, v21, vcc
	v_add_u32_e32 v18, v20, v18
	v_add_u32_e32 v20, -1, v18
	v_cvt_f32_u32_e32 v20, v20
	v_fma_f32 v20, v20, s29, 0
	v_mul_f32_e32 v20, v20, v20
	v_fmac_f32_e32 v20, v19, v19
	v_cmp_gt_f32_e32 vcc, s30, v20
	v_mul_f32_e32 v19, 0x4f800000, v20
	v_cndmask_b32_e32 v19, v20, v19, vcc
	v_sqrt_f32_e32 v20, v19
	v_add_u32_e32 v21, -1, v20
	v_fma_f32 v22, -v21, v20, v19
	v_cmp_ge_f32_e64 s[22:23], 0, v22
	v_add_u32_e32 v22, 1, v20
	v_cndmask_b32_e64 v21, v20, v21, s[22:23]
	v_fma_f32 v20, -v22, v20, v19
	v_cmp_lt_f32_e64 s[22:23], 0, v20
	v_cndmask_b32_e64 v20, v21, v22, s[22:23]
	v_mul_f32_e32 v21, 0x37800000, v20
	v_cndmask_b32_e32 v20, v20, v21, vcc
	v_cmp_class_f32_e32 vcc, v19, v10
	v_cndmask_b32_e32 v19, v20, v19, vcc
	v_cmp_nge_f32_e32 vcc, 1.0, v19
	v_add_f32_e32 v19, 1.0, v17
	v_cndmask_b32_e32 v17, v19, v17, vcc
	s_cbranch_scc1 .LBB31_294
; %bb.295:
	v_mul_f32_e32 v10, 4.0, v17
	s_mov_b32 s26, 0x461c4000
	v_div_scale_f32 v17, s[22:23], s26, s26, v10
	v_div_scale_f32 v18, vcc, v10, s26, v10
	v_rcp_f32_e32 v19, v17
	v_fma_f32 v20, -v17, v19, 1.0
	v_fmac_f32_e32 v19, v20, v19
	v_mul_f32_e32 v20, v18, v19
	v_fma_f32 v21, -v17, v20, v18
	v_fmac_f32_e32 v20, v21, v19
	v_fma_f32 v17, -v17, v20, v18
	v_div_fmas_f32 v17, v17, v19, v20
	v_div_fixup_f32 v10, v17, s26, v10
.LBB31_296:
	s_or_b64 exec, exec, s[24:25]
	v_or_b32_e32 v17, 0xa00, v0
	v_cmp_gt_u32_e64 s[22:23], s40, v17
	s_and_saveexec_b64 s[26:27], s[22:23]
	s_cbranch_execz .LBB31_300
; %bb.297:
	v_add_u32_e32 v11, s33, v17
	v_lshlrev_b32_e32 v17, 12, v11
	s_mov_b32 s24, 0x7ed55d16
	v_add3_u32 v11, v11, v17, s24
	v_lshrrev_b32_e32 v17, 19, v11
	v_xor_b32_e32 v11, v11, v17
	v_xor_b32_e32 v11, 0xc761c23c, v11
	v_lshl_add_u32 v11, v11, 5, v11
	v_mov_b32_e32 v18, 0xaccf6200
	v_add_u32_e32 v17, 0xe9f8cc1d, v11
	v_lshl_add_u32 v11, v11, 9, v18
	v_xor_b32_e32 v11, v17, v11
	v_lshlrev_b32_e32 v17, 3, v11
	s_mov_b32 s24, 0xfd7046c5
	v_add3_u32 v11, v11, v17, s24
	v_xor_b32_sdwa v11, v11, v11 dst_sel:DWORD dst_unused:UNUSED_PAD src0_sel:DWORD src1_sel:WORD_1
	v_xor_b32_e32 v11, 0xb55a4f09, v11
	v_mul_hi_u32 v17, v11, 3
	s_brev_b32 s24, -2
	s_movk_i32 s28, 0x2710
	s_mov_b32 s29, 0xbc8f1391
	v_sub_u32_e32 v18, v11, v17
	v_lshrrev_b32_e32 v18, 1, v18
	v_add_u32_e32 v17, v18, v17
	v_lshrrev_b32_e32 v17, 30, v17
	v_mul_lo_u32 v18, v17, s24
	v_mov_b32_e32 v17, 0
	s_mov_b32 s30, 0xbc8f
	s_brev_b32 s31, 12
	v_sub_u32_e32 v11, v11, v18
	v_max_u32_e32 v18, 1, v11
	s_mov_b32 s34, 0xf800000
	v_mov_b32_e32 v11, 0x260
.LBB31_298:                             ; =>This Inner Loop Header: Depth=1
	v_mul_hi_u32 v19, v18, s29
	s_add_i32 s28, s28, -2
	s_cmp_lg_u32 s28, 0
	v_lshrrev_b32_e32 v19, 15, v19
	v_mul_u32_u24_e32 v20, 0xadc8, v19
	v_sub_u32_e32 v18, v18, v20
	v_mul_lo_u32 v18, v18, s30
	v_mul_u32_u24_e32 v19, 0xd47, v19
	v_xor_b32_e32 v20, 0x7fffffff, v19
	v_cmp_lt_u32_e32 vcc, v18, v19
	v_sub_u32_e32 v19, 0, v19
	v_cndmask_b32_e32 v19, v19, v20, vcc
	v_add_u32_e32 v18, v19, v18
	v_mul_hi_u32 v20, v18, s29
	v_add_u32_e32 v19, -1, v18
	v_cvt_f32_u32_e32 v19, v19
	v_lshrrev_b32_e32 v20, 15, v20
	v_mul_u32_u24_e32 v21, 0xadc8, v20
	v_sub_u32_e32 v18, v18, v21
	v_mul_lo_u32 v18, v18, s30
	v_mul_u32_u24_e32 v20, 0xd47, v20
	v_xor_b32_e32 v21, 0x7fffffff, v20
	v_fma_f32 v19, v19, s31, 0
	v_cmp_lt_u32_e32 vcc, v18, v20
	v_sub_u32_e32 v20, 0, v20
	v_cndmask_b32_e32 v20, v20, v21, vcc
	v_add_u32_e32 v18, v20, v18
	v_add_u32_e32 v20, -1, v18
	v_cvt_f32_u32_e32 v20, v20
	v_fma_f32 v20, v20, s31, 0
	v_mul_f32_e32 v20, v20, v20
	v_fmac_f32_e32 v20, v19, v19
	v_cmp_gt_f32_e32 vcc, s34, v20
	v_mul_f32_e32 v19, 0x4f800000, v20
	v_cndmask_b32_e32 v19, v20, v19, vcc
	v_sqrt_f32_e32 v20, v19
	v_add_u32_e32 v21, -1, v20
	v_fma_f32 v22, -v21, v20, v19
	v_cmp_ge_f32_e64 s[24:25], 0, v22
	v_add_u32_e32 v22, 1, v20
	v_cndmask_b32_e64 v21, v20, v21, s[24:25]
	v_fma_f32 v20, -v22, v20, v19
	v_cmp_lt_f32_e64 s[24:25], 0, v20
	v_cndmask_b32_e64 v20, v21, v22, s[24:25]
	v_mul_f32_e32 v21, 0x37800000, v20
	v_cndmask_b32_e32 v20, v20, v21, vcc
	v_cmp_class_f32_e32 vcc, v19, v11
	v_cndmask_b32_e32 v19, v20, v19, vcc
	v_cmp_nge_f32_e32 vcc, 1.0, v19
	v_add_f32_e32 v19, 1.0, v17
	v_cndmask_b32_e32 v17, v19, v17, vcc
	v_mul_hi_u32 v19, v18, s29
	v_lshrrev_b32_e32 v19, 15, v19
	v_mul_u32_u24_e32 v20, 0xadc8, v19
	v_sub_u32_e32 v18, v18, v20
	v_mul_lo_u32 v18, v18, s30
	v_mul_u32_u24_e32 v19, 0xd47, v19
	v_xor_b32_e32 v20, 0x7fffffff, v19
	v_cmp_lt_u32_e32 vcc, v18, v19
	v_sub_u32_e32 v19, 0, v19
	v_cndmask_b32_e32 v19, v19, v20, vcc
	v_add_u32_e32 v18, v19, v18
	v_mul_hi_u32 v20, v18, s29
	v_add_u32_e32 v19, -1, v18
	v_cvt_f32_u32_e32 v19, v19
	v_lshrrev_b32_e32 v20, 15, v20
	v_mul_u32_u24_e32 v21, 0xadc8, v20
	v_sub_u32_e32 v18, v18, v21
	v_mul_lo_u32 v18, v18, s30
	v_mul_u32_u24_e32 v20, 0xd47, v20
	v_xor_b32_e32 v21, 0x7fffffff, v20
	v_fma_f32 v19, v19, s31, 0
	v_cmp_lt_u32_e32 vcc, v18, v20
	v_sub_u32_e32 v20, 0, v20
	v_cndmask_b32_e32 v20, v20, v21, vcc
	v_add_u32_e32 v18, v20, v18
	v_add_u32_e32 v20, -1, v18
	v_cvt_f32_u32_e32 v20, v20
	v_fma_f32 v20, v20, s31, 0
	v_mul_f32_e32 v20, v20, v20
	v_fmac_f32_e32 v20, v19, v19
	v_cmp_gt_f32_e32 vcc, s34, v20
	v_mul_f32_e32 v19, 0x4f800000, v20
	v_cndmask_b32_e32 v19, v20, v19, vcc
	v_sqrt_f32_e32 v20, v19
	v_add_u32_e32 v21, -1, v20
	v_fma_f32 v22, -v21, v20, v19
	v_cmp_ge_f32_e64 s[24:25], 0, v22
	v_add_u32_e32 v22, 1, v20
	v_cndmask_b32_e64 v21, v20, v21, s[24:25]
	v_fma_f32 v20, -v22, v20, v19
	v_cmp_lt_f32_e64 s[24:25], 0, v20
	v_cndmask_b32_e64 v20, v21, v22, s[24:25]
	v_mul_f32_e32 v21, 0x37800000, v20
	v_cndmask_b32_e32 v20, v20, v21, vcc
	v_cmp_class_f32_e32 vcc, v19, v11
	v_cndmask_b32_e32 v19, v20, v19, vcc
	v_cmp_nge_f32_e32 vcc, 1.0, v19
	v_add_f32_e32 v19, 1.0, v17
	v_cndmask_b32_e32 v17, v19, v17, vcc
	s_cbranch_scc1 .LBB31_298
; %bb.299:
	v_mul_f32_e32 v11, 4.0, v17
	s_mov_b32 s28, 0x461c4000
	v_div_scale_f32 v17, s[24:25], s28, s28, v11
	v_div_scale_f32 v18, vcc, v11, s28, v11
	v_rcp_f32_e32 v19, v17
	v_fma_f32 v20, -v17, v19, 1.0
	v_fmac_f32_e32 v19, v20, v19
	v_mul_f32_e32 v20, v18, v19
	v_fma_f32 v21, -v17, v20, v18
	v_fmac_f32_e32 v20, v21, v19
	v_fma_f32 v17, -v17, v20, v18
	v_div_fmas_f32 v17, v17, v19, v20
	v_div_fixup_f32 v11, v17, s28, v11
.LBB31_300:
	s_or_b64 exec, exec, s[26:27]
	v_or_b32_e32 v17, 0xb00, v0
	v_cmp_gt_u32_e64 s[24:25], s40, v17
	s_and_saveexec_b64 s[28:29], s[24:25]
	s_cbranch_execz .LBB31_304
; %bb.301:
	v_add_u32_e32 v12, s33, v17
	v_lshlrev_b32_e32 v17, 12, v12
	s_mov_b32 s26, 0x7ed55d16
	v_add3_u32 v12, v12, v17, s26
	v_lshrrev_b32_e32 v17, 19, v12
	v_xor_b32_e32 v12, v12, v17
	v_xor_b32_e32 v12, 0xc761c23c, v12
	v_lshl_add_u32 v12, v12, 5, v12
	v_mov_b32_e32 v18, 0xaccf6200
	v_add_u32_e32 v17, 0xe9f8cc1d, v12
	v_lshl_add_u32 v12, v12, 9, v18
	v_xor_b32_e32 v12, v17, v12
	v_lshlrev_b32_e32 v17, 3, v12
	s_mov_b32 s26, 0xfd7046c5
	v_add3_u32 v12, v12, v17, s26
	v_xor_b32_sdwa v12, v12, v12 dst_sel:DWORD dst_unused:UNUSED_PAD src0_sel:DWORD src1_sel:WORD_1
	v_xor_b32_e32 v12, 0xb55a4f09, v12
	v_mul_hi_u32 v17, v12, 3
	s_brev_b32 s26, -2
	s_movk_i32 s30, 0x2710
	s_mov_b32 s31, 0xbc8f1391
	v_sub_u32_e32 v18, v12, v17
	v_lshrrev_b32_e32 v18, 1, v18
	v_add_u32_e32 v17, v18, v17
	v_lshrrev_b32_e32 v17, 30, v17
	v_mul_lo_u32 v18, v17, s26
	v_mov_b32_e32 v17, 0
	s_mov_b32 s34, 0xbc8f
	s_brev_b32 s35, 12
	v_sub_u32_e32 v12, v12, v18
	v_max_u32_e32 v18, 1, v12
	s_mov_b32 s36, 0xf800000
	v_mov_b32_e32 v12, 0x260
.LBB31_302:                             ; =>This Inner Loop Header: Depth=1
	v_mul_hi_u32 v19, v18, s31
	s_add_i32 s30, s30, -2
	s_cmp_lg_u32 s30, 0
	v_lshrrev_b32_e32 v19, 15, v19
	v_mul_u32_u24_e32 v20, 0xadc8, v19
	v_sub_u32_e32 v18, v18, v20
	v_mul_lo_u32 v18, v18, s34
	v_mul_u32_u24_e32 v19, 0xd47, v19
	v_xor_b32_e32 v20, 0x7fffffff, v19
	v_cmp_lt_u32_e32 vcc, v18, v19
	v_sub_u32_e32 v19, 0, v19
	v_cndmask_b32_e32 v19, v19, v20, vcc
	v_add_u32_e32 v18, v19, v18
	v_mul_hi_u32 v20, v18, s31
	v_add_u32_e32 v19, -1, v18
	v_cvt_f32_u32_e32 v19, v19
	v_lshrrev_b32_e32 v20, 15, v20
	v_mul_u32_u24_e32 v21, 0xadc8, v20
	v_sub_u32_e32 v18, v18, v21
	v_mul_lo_u32 v18, v18, s34
	v_mul_u32_u24_e32 v20, 0xd47, v20
	v_xor_b32_e32 v21, 0x7fffffff, v20
	v_fma_f32 v19, v19, s35, 0
	v_cmp_lt_u32_e32 vcc, v18, v20
	v_sub_u32_e32 v20, 0, v20
	v_cndmask_b32_e32 v20, v20, v21, vcc
	v_add_u32_e32 v18, v20, v18
	v_add_u32_e32 v20, -1, v18
	v_cvt_f32_u32_e32 v20, v20
	v_fma_f32 v20, v20, s35, 0
	v_mul_f32_e32 v20, v20, v20
	v_fmac_f32_e32 v20, v19, v19
	v_cmp_gt_f32_e32 vcc, s36, v20
	v_mul_f32_e32 v19, 0x4f800000, v20
	v_cndmask_b32_e32 v19, v20, v19, vcc
	v_sqrt_f32_e32 v20, v19
	v_add_u32_e32 v21, -1, v20
	v_fma_f32 v22, -v21, v20, v19
	v_cmp_ge_f32_e64 s[26:27], 0, v22
	v_add_u32_e32 v22, 1, v20
	v_cndmask_b32_e64 v21, v20, v21, s[26:27]
	v_fma_f32 v20, -v22, v20, v19
	v_cmp_lt_f32_e64 s[26:27], 0, v20
	v_cndmask_b32_e64 v20, v21, v22, s[26:27]
	v_mul_f32_e32 v21, 0x37800000, v20
	v_cndmask_b32_e32 v20, v20, v21, vcc
	v_cmp_class_f32_e32 vcc, v19, v12
	v_cndmask_b32_e32 v19, v20, v19, vcc
	v_cmp_nge_f32_e32 vcc, 1.0, v19
	v_add_f32_e32 v19, 1.0, v17
	v_cndmask_b32_e32 v17, v19, v17, vcc
	v_mul_hi_u32 v19, v18, s31
	v_lshrrev_b32_e32 v19, 15, v19
	v_mul_u32_u24_e32 v20, 0xadc8, v19
	v_sub_u32_e32 v18, v18, v20
	v_mul_lo_u32 v18, v18, s34
	v_mul_u32_u24_e32 v19, 0xd47, v19
	v_xor_b32_e32 v20, 0x7fffffff, v19
	v_cmp_lt_u32_e32 vcc, v18, v19
	v_sub_u32_e32 v19, 0, v19
	v_cndmask_b32_e32 v19, v19, v20, vcc
	v_add_u32_e32 v18, v19, v18
	v_mul_hi_u32 v20, v18, s31
	v_add_u32_e32 v19, -1, v18
	v_cvt_f32_u32_e32 v19, v19
	v_lshrrev_b32_e32 v20, 15, v20
	v_mul_u32_u24_e32 v21, 0xadc8, v20
	v_sub_u32_e32 v18, v18, v21
	v_mul_lo_u32 v18, v18, s34
	v_mul_u32_u24_e32 v20, 0xd47, v20
	v_xor_b32_e32 v21, 0x7fffffff, v20
	v_fma_f32 v19, v19, s35, 0
	v_cmp_lt_u32_e32 vcc, v18, v20
	v_sub_u32_e32 v20, 0, v20
	v_cndmask_b32_e32 v20, v20, v21, vcc
	v_add_u32_e32 v18, v20, v18
	v_add_u32_e32 v20, -1, v18
	v_cvt_f32_u32_e32 v20, v20
	v_fma_f32 v20, v20, s35, 0
	v_mul_f32_e32 v20, v20, v20
	v_fmac_f32_e32 v20, v19, v19
	v_cmp_gt_f32_e32 vcc, s36, v20
	v_mul_f32_e32 v19, 0x4f800000, v20
	v_cndmask_b32_e32 v19, v20, v19, vcc
	v_sqrt_f32_e32 v20, v19
	v_add_u32_e32 v21, -1, v20
	v_fma_f32 v22, -v21, v20, v19
	v_cmp_ge_f32_e64 s[26:27], 0, v22
	v_add_u32_e32 v22, 1, v20
	v_cndmask_b32_e64 v21, v20, v21, s[26:27]
	v_fma_f32 v20, -v22, v20, v19
	v_cmp_lt_f32_e64 s[26:27], 0, v20
	v_cndmask_b32_e64 v20, v21, v22, s[26:27]
	v_mul_f32_e32 v21, 0x37800000, v20
	v_cndmask_b32_e32 v20, v20, v21, vcc
	v_cmp_class_f32_e32 vcc, v19, v12
	v_cndmask_b32_e32 v19, v20, v19, vcc
	v_cmp_nge_f32_e32 vcc, 1.0, v19
	v_add_f32_e32 v19, 1.0, v17
	v_cndmask_b32_e32 v17, v19, v17, vcc
	s_cbranch_scc1 .LBB31_302
; %bb.303:
	v_mul_f32_e32 v12, 4.0, v17
	s_mov_b32 s30, 0x461c4000
	v_div_scale_f32 v17, s[26:27], s30, s30, v12
	v_div_scale_f32 v18, vcc, v12, s30, v12
	v_rcp_f32_e32 v19, v17
	v_fma_f32 v20, -v17, v19, 1.0
	v_fmac_f32_e32 v19, v20, v19
	v_mul_f32_e32 v20, v18, v19
	v_fma_f32 v21, -v17, v20, v18
	v_fmac_f32_e32 v20, v21, v19
	v_fma_f32 v17, -v17, v20, v18
	v_div_fmas_f32 v17, v17, v19, v20
	v_div_fixup_f32 v12, v17, s30, v12
.LBB31_304:
	s_or_b64 exec, exec, s[28:29]
	v_or_b32_e32 v17, 0xc00, v0
	v_cmp_gt_u32_e64 s[26:27], s40, v17
	s_and_saveexec_b64 s[30:31], s[26:27]
	s_cbranch_execz .LBB31_308
; %bb.305:
	v_add_u32_e32 v13, s33, v17
	v_lshlrev_b32_e32 v17, 12, v13
	s_mov_b32 s28, 0x7ed55d16
	v_add3_u32 v13, v13, v17, s28
	v_lshrrev_b32_e32 v17, 19, v13
	v_xor_b32_e32 v13, v13, v17
	v_xor_b32_e32 v13, 0xc761c23c, v13
	v_lshl_add_u32 v13, v13, 5, v13
	v_mov_b32_e32 v18, 0xaccf6200
	v_add_u32_e32 v17, 0xe9f8cc1d, v13
	v_lshl_add_u32 v13, v13, 9, v18
	v_xor_b32_e32 v13, v17, v13
	v_lshlrev_b32_e32 v17, 3, v13
	s_mov_b32 s28, 0xfd7046c5
	v_add3_u32 v13, v13, v17, s28
	v_xor_b32_sdwa v13, v13, v13 dst_sel:DWORD dst_unused:UNUSED_PAD src0_sel:DWORD src1_sel:WORD_1
	v_xor_b32_e32 v13, 0xb55a4f09, v13
	v_mul_hi_u32 v17, v13, 3
	s_brev_b32 s28, -2
	s_movk_i32 s34, 0x2710
	s_mov_b32 s35, 0xbc8f1391
	v_sub_u32_e32 v18, v13, v17
	v_lshrrev_b32_e32 v18, 1, v18
	v_add_u32_e32 v17, v18, v17
	v_lshrrev_b32_e32 v17, 30, v17
	v_mul_lo_u32 v18, v17, s28
	v_mov_b32_e32 v17, 0
	s_mov_b32 s36, 0xbc8f
	s_brev_b32 s37, 12
	v_sub_u32_e32 v13, v13, v18
	v_max_u32_e32 v18, 1, v13
	s_mov_b32 s38, 0xf800000
	v_mov_b32_e32 v13, 0x260
.LBB31_306:                             ; =>This Inner Loop Header: Depth=1
	v_mul_hi_u32 v19, v18, s35
	s_add_i32 s34, s34, -2
	s_cmp_lg_u32 s34, 0
	v_lshrrev_b32_e32 v19, 15, v19
	v_mul_u32_u24_e32 v20, 0xadc8, v19
	v_sub_u32_e32 v18, v18, v20
	v_mul_lo_u32 v18, v18, s36
	v_mul_u32_u24_e32 v19, 0xd47, v19
	v_xor_b32_e32 v20, 0x7fffffff, v19
	v_cmp_lt_u32_e32 vcc, v18, v19
	v_sub_u32_e32 v19, 0, v19
	v_cndmask_b32_e32 v19, v19, v20, vcc
	v_add_u32_e32 v18, v19, v18
	v_mul_hi_u32 v20, v18, s35
	v_add_u32_e32 v19, -1, v18
	v_cvt_f32_u32_e32 v19, v19
	v_lshrrev_b32_e32 v20, 15, v20
	v_mul_u32_u24_e32 v21, 0xadc8, v20
	v_sub_u32_e32 v18, v18, v21
	v_mul_lo_u32 v18, v18, s36
	v_mul_u32_u24_e32 v20, 0xd47, v20
	v_xor_b32_e32 v21, 0x7fffffff, v20
	v_fma_f32 v19, v19, s37, 0
	v_cmp_lt_u32_e32 vcc, v18, v20
	v_sub_u32_e32 v20, 0, v20
	v_cndmask_b32_e32 v20, v20, v21, vcc
	v_add_u32_e32 v18, v20, v18
	v_add_u32_e32 v20, -1, v18
	v_cvt_f32_u32_e32 v20, v20
	v_fma_f32 v20, v20, s37, 0
	v_mul_f32_e32 v20, v20, v20
	v_fmac_f32_e32 v20, v19, v19
	v_cmp_gt_f32_e32 vcc, s38, v20
	v_mul_f32_e32 v19, 0x4f800000, v20
	v_cndmask_b32_e32 v19, v20, v19, vcc
	v_sqrt_f32_e32 v20, v19
	v_add_u32_e32 v21, -1, v20
	v_fma_f32 v22, -v21, v20, v19
	v_cmp_ge_f32_e64 s[28:29], 0, v22
	v_add_u32_e32 v22, 1, v20
	v_cndmask_b32_e64 v21, v20, v21, s[28:29]
	v_fma_f32 v20, -v22, v20, v19
	v_cmp_lt_f32_e64 s[28:29], 0, v20
	v_cndmask_b32_e64 v20, v21, v22, s[28:29]
	v_mul_f32_e32 v21, 0x37800000, v20
	v_cndmask_b32_e32 v20, v20, v21, vcc
	v_cmp_class_f32_e32 vcc, v19, v13
	v_cndmask_b32_e32 v19, v20, v19, vcc
	v_cmp_nge_f32_e32 vcc, 1.0, v19
	v_add_f32_e32 v19, 1.0, v17
	v_cndmask_b32_e32 v17, v19, v17, vcc
	v_mul_hi_u32 v19, v18, s35
	v_lshrrev_b32_e32 v19, 15, v19
	v_mul_u32_u24_e32 v20, 0xadc8, v19
	v_sub_u32_e32 v18, v18, v20
	v_mul_lo_u32 v18, v18, s36
	v_mul_u32_u24_e32 v19, 0xd47, v19
	v_xor_b32_e32 v20, 0x7fffffff, v19
	v_cmp_lt_u32_e32 vcc, v18, v19
	v_sub_u32_e32 v19, 0, v19
	v_cndmask_b32_e32 v19, v19, v20, vcc
	v_add_u32_e32 v18, v19, v18
	v_mul_hi_u32 v20, v18, s35
	v_add_u32_e32 v19, -1, v18
	v_cvt_f32_u32_e32 v19, v19
	v_lshrrev_b32_e32 v20, 15, v20
	v_mul_u32_u24_e32 v21, 0xadc8, v20
	v_sub_u32_e32 v18, v18, v21
	v_mul_lo_u32 v18, v18, s36
	v_mul_u32_u24_e32 v20, 0xd47, v20
	v_xor_b32_e32 v21, 0x7fffffff, v20
	v_fma_f32 v19, v19, s37, 0
	v_cmp_lt_u32_e32 vcc, v18, v20
	v_sub_u32_e32 v20, 0, v20
	v_cndmask_b32_e32 v20, v20, v21, vcc
	v_add_u32_e32 v18, v20, v18
	v_add_u32_e32 v20, -1, v18
	v_cvt_f32_u32_e32 v20, v20
	v_fma_f32 v20, v20, s37, 0
	v_mul_f32_e32 v20, v20, v20
	v_fmac_f32_e32 v20, v19, v19
	v_cmp_gt_f32_e32 vcc, s38, v20
	v_mul_f32_e32 v19, 0x4f800000, v20
	v_cndmask_b32_e32 v19, v20, v19, vcc
	v_sqrt_f32_e32 v20, v19
	v_add_u32_e32 v21, -1, v20
	v_fma_f32 v22, -v21, v20, v19
	v_cmp_ge_f32_e64 s[28:29], 0, v22
	v_add_u32_e32 v22, 1, v20
	v_cndmask_b32_e64 v21, v20, v21, s[28:29]
	v_fma_f32 v20, -v22, v20, v19
	v_cmp_lt_f32_e64 s[28:29], 0, v20
	v_cndmask_b32_e64 v20, v21, v22, s[28:29]
	v_mul_f32_e32 v21, 0x37800000, v20
	v_cndmask_b32_e32 v20, v20, v21, vcc
	v_cmp_class_f32_e32 vcc, v19, v13
	v_cndmask_b32_e32 v19, v20, v19, vcc
	v_cmp_nge_f32_e32 vcc, 1.0, v19
	v_add_f32_e32 v19, 1.0, v17
	v_cndmask_b32_e32 v17, v19, v17, vcc
	s_cbranch_scc1 .LBB31_306
; %bb.307:
	v_mul_f32_e32 v13, 4.0, v17
	s_mov_b32 s34, 0x461c4000
	v_div_scale_f32 v17, s[28:29], s34, s34, v13
	v_div_scale_f32 v18, vcc, v13, s34, v13
	v_rcp_f32_e32 v19, v17
	v_fma_f32 v20, -v17, v19, 1.0
	v_fmac_f32_e32 v19, v20, v19
	v_mul_f32_e32 v20, v18, v19
	v_fma_f32 v21, -v17, v20, v18
	v_fmac_f32_e32 v20, v21, v19
	v_fma_f32 v17, -v17, v20, v18
	v_div_fmas_f32 v17, v17, v19, v20
	v_div_fixup_f32 v13, v17, s34, v13
.LBB31_308:
	s_or_b64 exec, exec, s[30:31]
	v_or_b32_e32 v17, 0xd00, v0
	v_cmp_gt_u32_e64 s[28:29], s40, v17
	s_and_saveexec_b64 s[34:35], s[28:29]
	s_cbranch_execz .LBB31_312
; %bb.309:
	v_add_u32_e32 v14, s33, v17
	v_lshlrev_b32_e32 v17, 12, v14
	s_mov_b32 s30, 0x7ed55d16
	v_add3_u32 v14, v14, v17, s30
	v_lshrrev_b32_e32 v17, 19, v14
	v_xor_b32_e32 v14, v14, v17
	v_xor_b32_e32 v14, 0xc761c23c, v14
	v_lshl_add_u32 v14, v14, 5, v14
	v_mov_b32_e32 v18, 0xaccf6200
	v_add_u32_e32 v17, 0xe9f8cc1d, v14
	v_lshl_add_u32 v14, v14, 9, v18
	v_xor_b32_e32 v14, v17, v14
	v_lshlrev_b32_e32 v17, 3, v14
	s_mov_b32 s30, 0xfd7046c5
	v_add3_u32 v14, v14, v17, s30
	v_xor_b32_sdwa v14, v14, v14 dst_sel:DWORD dst_unused:UNUSED_PAD src0_sel:DWORD src1_sel:WORD_1
	v_xor_b32_e32 v14, 0xb55a4f09, v14
	v_mul_hi_u32 v17, v14, 3
	s_brev_b32 s30, -2
	s_movk_i32 s36, 0x2710
	s_mov_b32 s37, 0xbc8f1391
	v_sub_u32_e32 v18, v14, v17
	v_lshrrev_b32_e32 v18, 1, v18
	v_add_u32_e32 v17, v18, v17
	v_lshrrev_b32_e32 v17, 30, v17
	v_mul_lo_u32 v18, v17, s30
	v_mov_b32_e32 v17, 0
	s_mov_b32 s38, 0xbc8f
	s_brev_b32 s39, 12
	v_sub_u32_e32 v14, v14, v18
	v_max_u32_e32 v18, 1, v14
	s_mov_b32 s41, 0xf800000
	v_mov_b32_e32 v14, 0x260
.LBB31_310:                             ; =>This Inner Loop Header: Depth=1
	v_mul_hi_u32 v19, v18, s37
	s_add_i32 s36, s36, -2
	s_cmp_lg_u32 s36, 0
	v_lshrrev_b32_e32 v19, 15, v19
	v_mul_u32_u24_e32 v20, 0xadc8, v19
	v_sub_u32_e32 v18, v18, v20
	v_mul_lo_u32 v18, v18, s38
	v_mul_u32_u24_e32 v19, 0xd47, v19
	v_xor_b32_e32 v20, 0x7fffffff, v19
	v_cmp_lt_u32_e32 vcc, v18, v19
	v_sub_u32_e32 v19, 0, v19
	v_cndmask_b32_e32 v19, v19, v20, vcc
	v_add_u32_e32 v18, v19, v18
	v_mul_hi_u32 v20, v18, s37
	v_add_u32_e32 v19, -1, v18
	v_cvt_f32_u32_e32 v19, v19
	v_lshrrev_b32_e32 v20, 15, v20
	v_mul_u32_u24_e32 v21, 0xadc8, v20
	v_sub_u32_e32 v18, v18, v21
	v_mul_lo_u32 v18, v18, s38
	v_mul_u32_u24_e32 v20, 0xd47, v20
	v_xor_b32_e32 v21, 0x7fffffff, v20
	v_fma_f32 v19, v19, s39, 0
	v_cmp_lt_u32_e32 vcc, v18, v20
	v_sub_u32_e32 v20, 0, v20
	v_cndmask_b32_e32 v20, v20, v21, vcc
	v_add_u32_e32 v18, v20, v18
	v_add_u32_e32 v20, -1, v18
	v_cvt_f32_u32_e32 v20, v20
	v_fma_f32 v20, v20, s39, 0
	v_mul_f32_e32 v20, v20, v20
	v_fmac_f32_e32 v20, v19, v19
	v_cmp_gt_f32_e32 vcc, s41, v20
	v_mul_f32_e32 v19, 0x4f800000, v20
	v_cndmask_b32_e32 v19, v20, v19, vcc
	v_sqrt_f32_e32 v20, v19
	v_add_u32_e32 v21, -1, v20
	v_fma_f32 v22, -v21, v20, v19
	v_cmp_ge_f32_e64 s[30:31], 0, v22
	v_add_u32_e32 v22, 1, v20
	v_cndmask_b32_e64 v21, v20, v21, s[30:31]
	v_fma_f32 v20, -v22, v20, v19
	v_cmp_lt_f32_e64 s[30:31], 0, v20
	v_cndmask_b32_e64 v20, v21, v22, s[30:31]
	v_mul_f32_e32 v21, 0x37800000, v20
	v_cndmask_b32_e32 v20, v20, v21, vcc
	v_cmp_class_f32_e32 vcc, v19, v14
	v_cndmask_b32_e32 v19, v20, v19, vcc
	v_cmp_nge_f32_e32 vcc, 1.0, v19
	v_add_f32_e32 v19, 1.0, v17
	v_cndmask_b32_e32 v17, v19, v17, vcc
	v_mul_hi_u32 v19, v18, s37
	v_lshrrev_b32_e32 v19, 15, v19
	v_mul_u32_u24_e32 v20, 0xadc8, v19
	v_sub_u32_e32 v18, v18, v20
	v_mul_lo_u32 v18, v18, s38
	v_mul_u32_u24_e32 v19, 0xd47, v19
	v_xor_b32_e32 v20, 0x7fffffff, v19
	v_cmp_lt_u32_e32 vcc, v18, v19
	v_sub_u32_e32 v19, 0, v19
	v_cndmask_b32_e32 v19, v19, v20, vcc
	v_add_u32_e32 v18, v19, v18
	v_mul_hi_u32 v20, v18, s37
	v_add_u32_e32 v19, -1, v18
	v_cvt_f32_u32_e32 v19, v19
	v_lshrrev_b32_e32 v20, 15, v20
	v_mul_u32_u24_e32 v21, 0xadc8, v20
	v_sub_u32_e32 v18, v18, v21
	v_mul_lo_u32 v18, v18, s38
	v_mul_u32_u24_e32 v20, 0xd47, v20
	v_xor_b32_e32 v21, 0x7fffffff, v20
	v_fma_f32 v19, v19, s39, 0
	v_cmp_lt_u32_e32 vcc, v18, v20
	v_sub_u32_e32 v20, 0, v20
	v_cndmask_b32_e32 v20, v20, v21, vcc
	v_add_u32_e32 v18, v20, v18
	v_add_u32_e32 v20, -1, v18
	v_cvt_f32_u32_e32 v20, v20
	v_fma_f32 v20, v20, s39, 0
	v_mul_f32_e32 v20, v20, v20
	v_fmac_f32_e32 v20, v19, v19
	v_cmp_gt_f32_e32 vcc, s41, v20
	v_mul_f32_e32 v19, 0x4f800000, v20
	v_cndmask_b32_e32 v19, v20, v19, vcc
	v_sqrt_f32_e32 v20, v19
	v_add_u32_e32 v21, -1, v20
	v_fma_f32 v22, -v21, v20, v19
	v_cmp_ge_f32_e64 s[30:31], 0, v22
	v_add_u32_e32 v22, 1, v20
	v_cndmask_b32_e64 v21, v20, v21, s[30:31]
	v_fma_f32 v20, -v22, v20, v19
	v_cmp_lt_f32_e64 s[30:31], 0, v20
	v_cndmask_b32_e64 v20, v21, v22, s[30:31]
	v_mul_f32_e32 v21, 0x37800000, v20
	v_cndmask_b32_e32 v20, v20, v21, vcc
	v_cmp_class_f32_e32 vcc, v19, v14
	v_cndmask_b32_e32 v19, v20, v19, vcc
	v_cmp_nge_f32_e32 vcc, 1.0, v19
	v_add_f32_e32 v19, 1.0, v17
	v_cndmask_b32_e32 v17, v19, v17, vcc
	s_cbranch_scc1 .LBB31_310
; %bb.311:
	v_mul_f32_e32 v14, 4.0, v17
	s_mov_b32 s36, 0x461c4000
	v_div_scale_f32 v17, s[30:31], s36, s36, v14
	v_div_scale_f32 v18, vcc, v14, s36, v14
	v_rcp_f32_e32 v19, v17
	v_fma_f32 v20, -v17, v19, 1.0
	v_fmac_f32_e32 v19, v20, v19
	v_mul_f32_e32 v20, v18, v19
	v_fma_f32 v21, -v17, v20, v18
	v_fmac_f32_e32 v20, v21, v19
	v_fma_f32 v17, -v17, v20, v18
	v_div_fmas_f32 v17, v17, v19, v20
	v_div_fixup_f32 v14, v17, s36, v14
.LBB31_312:
	s_or_b64 exec, exec, s[34:35]
	v_or_b32_e32 v17, 0xe00, v0
	v_cmp_gt_u32_e64 s[30:31], s40, v17
	s_and_saveexec_b64 s[36:37], s[30:31]
	s_cbranch_execz .LBB31_316
; %bb.313:
	v_add_u32_e32 v15, s33, v17
	v_lshlrev_b32_e32 v17, 12, v15
	s_mov_b32 s34, 0x7ed55d16
	v_add3_u32 v15, v15, v17, s34
	v_lshrrev_b32_e32 v17, 19, v15
	v_xor_b32_e32 v15, v15, v17
	v_xor_b32_e32 v15, 0xc761c23c, v15
	v_lshl_add_u32 v15, v15, 5, v15
	v_mov_b32_e32 v18, 0xaccf6200
	v_add_u32_e32 v17, 0xe9f8cc1d, v15
	v_lshl_add_u32 v15, v15, 9, v18
	v_xor_b32_e32 v15, v17, v15
	v_lshlrev_b32_e32 v17, 3, v15
	s_mov_b32 s34, 0xfd7046c5
	v_add3_u32 v15, v15, v17, s34
	v_xor_b32_sdwa v15, v15, v15 dst_sel:DWORD dst_unused:UNUSED_PAD src0_sel:DWORD src1_sel:WORD_1
	v_xor_b32_e32 v15, 0xb55a4f09, v15
	v_mul_hi_u32 v17, v15, 3
	s_brev_b32 s34, -2
	s_movk_i32 s38, 0x2710
	s_mov_b32 s39, 0xbc8f1391
	v_sub_u32_e32 v18, v15, v17
	v_lshrrev_b32_e32 v18, 1, v18
	v_add_u32_e32 v17, v18, v17
	v_lshrrev_b32_e32 v17, 30, v17
	v_mul_lo_u32 v18, v17, s34
	v_mov_b32_e32 v17, 0
	s_mov_b32 s41, 0xbc8f
	s_brev_b32 s42, 12
	v_sub_u32_e32 v15, v15, v18
	v_max_u32_e32 v18, 1, v15
	s_mov_b32 s43, 0xf800000
	v_mov_b32_e32 v15, 0x260
.LBB31_314:                             ; =>This Inner Loop Header: Depth=1
	v_mul_hi_u32 v19, v18, s39
	s_add_i32 s38, s38, -2
	s_cmp_lg_u32 s38, 0
	v_lshrrev_b32_e32 v19, 15, v19
	v_mul_u32_u24_e32 v20, 0xadc8, v19
	v_sub_u32_e32 v18, v18, v20
	v_mul_lo_u32 v18, v18, s41
	v_mul_u32_u24_e32 v19, 0xd47, v19
	v_xor_b32_e32 v20, 0x7fffffff, v19
	v_cmp_lt_u32_e32 vcc, v18, v19
	v_sub_u32_e32 v19, 0, v19
	v_cndmask_b32_e32 v19, v19, v20, vcc
	v_add_u32_e32 v18, v19, v18
	v_mul_hi_u32 v20, v18, s39
	v_add_u32_e32 v19, -1, v18
	v_cvt_f32_u32_e32 v19, v19
	v_lshrrev_b32_e32 v20, 15, v20
	v_mul_u32_u24_e32 v21, 0xadc8, v20
	v_sub_u32_e32 v18, v18, v21
	v_mul_lo_u32 v18, v18, s41
	v_mul_u32_u24_e32 v20, 0xd47, v20
	v_xor_b32_e32 v21, 0x7fffffff, v20
	v_fma_f32 v19, v19, s42, 0
	v_cmp_lt_u32_e32 vcc, v18, v20
	v_sub_u32_e32 v20, 0, v20
	v_cndmask_b32_e32 v20, v20, v21, vcc
	v_add_u32_e32 v18, v20, v18
	v_add_u32_e32 v20, -1, v18
	v_cvt_f32_u32_e32 v20, v20
	v_fma_f32 v20, v20, s42, 0
	v_mul_f32_e32 v20, v20, v20
	v_fmac_f32_e32 v20, v19, v19
	v_cmp_gt_f32_e32 vcc, s43, v20
	v_mul_f32_e32 v19, 0x4f800000, v20
	v_cndmask_b32_e32 v19, v20, v19, vcc
	v_sqrt_f32_e32 v20, v19
	v_add_u32_e32 v21, -1, v20
	v_fma_f32 v22, -v21, v20, v19
	v_cmp_ge_f32_e64 s[34:35], 0, v22
	v_add_u32_e32 v22, 1, v20
	v_cndmask_b32_e64 v21, v20, v21, s[34:35]
	v_fma_f32 v20, -v22, v20, v19
	v_cmp_lt_f32_e64 s[34:35], 0, v20
	v_cndmask_b32_e64 v20, v21, v22, s[34:35]
	v_mul_f32_e32 v21, 0x37800000, v20
	v_cndmask_b32_e32 v20, v20, v21, vcc
	v_cmp_class_f32_e32 vcc, v19, v15
	v_cndmask_b32_e32 v19, v20, v19, vcc
	v_cmp_nge_f32_e32 vcc, 1.0, v19
	v_add_f32_e32 v19, 1.0, v17
	v_cndmask_b32_e32 v17, v19, v17, vcc
	v_mul_hi_u32 v19, v18, s39
	v_lshrrev_b32_e32 v19, 15, v19
	v_mul_u32_u24_e32 v20, 0xadc8, v19
	v_sub_u32_e32 v18, v18, v20
	v_mul_lo_u32 v18, v18, s41
	v_mul_u32_u24_e32 v19, 0xd47, v19
	v_xor_b32_e32 v20, 0x7fffffff, v19
	v_cmp_lt_u32_e32 vcc, v18, v19
	v_sub_u32_e32 v19, 0, v19
	v_cndmask_b32_e32 v19, v19, v20, vcc
	v_add_u32_e32 v18, v19, v18
	v_mul_hi_u32 v20, v18, s39
	v_add_u32_e32 v19, -1, v18
	v_cvt_f32_u32_e32 v19, v19
	v_lshrrev_b32_e32 v20, 15, v20
	v_mul_u32_u24_e32 v21, 0xadc8, v20
	v_sub_u32_e32 v18, v18, v21
	v_mul_lo_u32 v18, v18, s41
	v_mul_u32_u24_e32 v20, 0xd47, v20
	v_xor_b32_e32 v21, 0x7fffffff, v20
	v_fma_f32 v19, v19, s42, 0
	v_cmp_lt_u32_e32 vcc, v18, v20
	v_sub_u32_e32 v20, 0, v20
	v_cndmask_b32_e32 v20, v20, v21, vcc
	v_add_u32_e32 v18, v20, v18
	v_add_u32_e32 v20, -1, v18
	v_cvt_f32_u32_e32 v20, v20
	v_fma_f32 v20, v20, s42, 0
	v_mul_f32_e32 v20, v20, v20
	v_fmac_f32_e32 v20, v19, v19
	v_cmp_gt_f32_e32 vcc, s43, v20
	v_mul_f32_e32 v19, 0x4f800000, v20
	v_cndmask_b32_e32 v19, v20, v19, vcc
	v_sqrt_f32_e32 v20, v19
	v_add_u32_e32 v21, -1, v20
	v_fma_f32 v22, -v21, v20, v19
	v_cmp_ge_f32_e64 s[34:35], 0, v22
	v_add_u32_e32 v22, 1, v20
	v_cndmask_b32_e64 v21, v20, v21, s[34:35]
	v_fma_f32 v20, -v22, v20, v19
	v_cmp_lt_f32_e64 s[34:35], 0, v20
	v_cndmask_b32_e64 v20, v21, v22, s[34:35]
	v_mul_f32_e32 v21, 0x37800000, v20
	v_cndmask_b32_e32 v20, v20, v21, vcc
	v_cmp_class_f32_e32 vcc, v19, v15
	v_cndmask_b32_e32 v19, v20, v19, vcc
	v_cmp_nge_f32_e32 vcc, 1.0, v19
	v_add_f32_e32 v19, 1.0, v17
	v_cndmask_b32_e32 v17, v19, v17, vcc
	s_cbranch_scc1 .LBB31_314
; %bb.315:
	v_mul_f32_e32 v15, 4.0, v17
	s_mov_b32 s38, 0x461c4000
	v_div_scale_f32 v17, s[34:35], s38, s38, v15
	v_div_scale_f32 v18, vcc, v15, s38, v15
	v_rcp_f32_e32 v19, v17
	v_fma_f32 v20, -v17, v19, 1.0
	v_fmac_f32_e32 v19, v20, v19
	v_mul_f32_e32 v20, v18, v19
	v_fma_f32 v21, -v17, v20, v18
	v_fmac_f32_e32 v20, v21, v19
	v_fma_f32 v17, -v17, v20, v18
	v_div_fmas_f32 v17, v17, v19, v20
	v_div_fixup_f32 v15, v17, s38, v15
.LBB31_316:
	s_or_b64 exec, exec, s[36:37]
	v_or_b32_e32 v17, 0xf00, v0
	v_cmp_gt_u32_e64 s[34:35], s40, v17
	s_and_saveexec_b64 s[38:39], s[34:35]
	s_cbranch_execz .LBB31_320
; %bb.317:
	v_add_u32_e32 v16, s33, v17
	v_lshlrev_b32_e32 v17, 12, v16
	s_mov_b32 s33, 0x7ed55d16
	v_add3_u32 v16, v16, v17, s33
	v_lshrrev_b32_e32 v17, 19, v16
	v_xor_b32_e32 v16, v16, v17
	v_xor_b32_e32 v16, 0xc761c23c, v16
	v_lshl_add_u32 v16, v16, 5, v16
	v_mov_b32_e32 v18, 0xaccf6200
	v_add_u32_e32 v17, 0xe9f8cc1d, v16
	v_lshl_add_u32 v16, v16, 9, v18
	v_xor_b32_e32 v16, v17, v16
	v_lshlrev_b32_e32 v17, 3, v16
	s_mov_b32 s33, 0xfd7046c5
	v_add3_u32 v16, v16, v17, s33
	v_xor_b32_sdwa v16, v16, v16 dst_sel:DWORD dst_unused:UNUSED_PAD src0_sel:DWORD src1_sel:WORD_1
	v_xor_b32_e32 v16, 0xb55a4f09, v16
	v_mul_hi_u32 v17, v16, 3
	s_brev_b32 s33, -2
	s_mov_b32 s41, 0xbc8f1391
	s_mov_b32 s42, 0xbc8f
	v_sub_u32_e32 v18, v16, v17
	v_lshrrev_b32_e32 v18, 1, v18
	v_add_u32_e32 v17, v18, v17
	v_lshrrev_b32_e32 v17, 30, v17
	v_mul_lo_u32 v18, v17, s33
	v_mov_b32_e32 v17, 0
	s_movk_i32 s33, 0x2710
	s_brev_b32 s43, 12
	v_sub_u32_e32 v16, v16, v18
	v_max_u32_e32 v18, 1, v16
	s_mov_b32 s44, 0xf800000
	v_mov_b32_e32 v16, 0x260
.LBB31_318:                             ; =>This Inner Loop Header: Depth=1
	v_mul_hi_u32 v19, v18, s41
	s_add_i32 s33, s33, -2
	s_cmp_lg_u32 s33, 0
	v_lshrrev_b32_e32 v19, 15, v19
	v_mul_u32_u24_e32 v20, 0xadc8, v19
	v_sub_u32_e32 v18, v18, v20
	v_mul_lo_u32 v18, v18, s42
	v_mul_u32_u24_e32 v19, 0xd47, v19
	v_xor_b32_e32 v20, 0x7fffffff, v19
	v_cmp_lt_u32_e32 vcc, v18, v19
	v_sub_u32_e32 v19, 0, v19
	v_cndmask_b32_e32 v19, v19, v20, vcc
	v_add_u32_e32 v18, v19, v18
	v_mul_hi_u32 v20, v18, s41
	v_add_u32_e32 v19, -1, v18
	v_cvt_f32_u32_e32 v19, v19
	v_lshrrev_b32_e32 v20, 15, v20
	v_mul_u32_u24_e32 v21, 0xadc8, v20
	v_sub_u32_e32 v18, v18, v21
	v_mul_lo_u32 v18, v18, s42
	v_mul_u32_u24_e32 v20, 0xd47, v20
	v_xor_b32_e32 v21, 0x7fffffff, v20
	v_fma_f32 v19, v19, s43, 0
	v_cmp_lt_u32_e32 vcc, v18, v20
	v_sub_u32_e32 v20, 0, v20
	v_cndmask_b32_e32 v20, v20, v21, vcc
	v_add_u32_e32 v18, v20, v18
	v_add_u32_e32 v20, -1, v18
	v_cvt_f32_u32_e32 v20, v20
	v_fma_f32 v20, v20, s43, 0
	v_mul_f32_e32 v20, v20, v20
	v_fmac_f32_e32 v20, v19, v19
	v_cmp_gt_f32_e32 vcc, s44, v20
	v_mul_f32_e32 v19, 0x4f800000, v20
	v_cndmask_b32_e32 v19, v20, v19, vcc
	v_sqrt_f32_e32 v20, v19
	v_add_u32_e32 v21, -1, v20
	v_fma_f32 v22, -v21, v20, v19
	v_cmp_ge_f32_e64 s[36:37], 0, v22
	v_add_u32_e32 v22, 1, v20
	v_cndmask_b32_e64 v21, v20, v21, s[36:37]
	v_fma_f32 v20, -v22, v20, v19
	v_cmp_lt_f32_e64 s[36:37], 0, v20
	v_cndmask_b32_e64 v20, v21, v22, s[36:37]
	v_mul_f32_e32 v21, 0x37800000, v20
	v_cndmask_b32_e32 v20, v20, v21, vcc
	v_cmp_class_f32_e32 vcc, v19, v16
	v_cndmask_b32_e32 v19, v20, v19, vcc
	v_cmp_nge_f32_e32 vcc, 1.0, v19
	v_add_f32_e32 v19, 1.0, v17
	v_cndmask_b32_e32 v17, v19, v17, vcc
	v_mul_hi_u32 v19, v18, s41
	v_lshrrev_b32_e32 v19, 15, v19
	v_mul_u32_u24_e32 v20, 0xadc8, v19
	v_sub_u32_e32 v18, v18, v20
	v_mul_lo_u32 v18, v18, s42
	v_mul_u32_u24_e32 v19, 0xd47, v19
	v_xor_b32_e32 v20, 0x7fffffff, v19
	v_cmp_lt_u32_e32 vcc, v18, v19
	v_sub_u32_e32 v19, 0, v19
	v_cndmask_b32_e32 v19, v19, v20, vcc
	v_add_u32_e32 v18, v19, v18
	v_mul_hi_u32 v20, v18, s41
	v_add_u32_e32 v19, -1, v18
	v_cvt_f32_u32_e32 v19, v19
	v_lshrrev_b32_e32 v20, 15, v20
	v_mul_u32_u24_e32 v21, 0xadc8, v20
	v_sub_u32_e32 v18, v18, v21
	v_mul_lo_u32 v18, v18, s42
	v_mul_u32_u24_e32 v20, 0xd47, v20
	v_xor_b32_e32 v21, 0x7fffffff, v20
	v_fma_f32 v19, v19, s43, 0
	v_cmp_lt_u32_e32 vcc, v18, v20
	v_sub_u32_e32 v20, 0, v20
	v_cndmask_b32_e32 v20, v20, v21, vcc
	v_add_u32_e32 v18, v20, v18
	v_add_u32_e32 v20, -1, v18
	v_cvt_f32_u32_e32 v20, v20
	v_fma_f32 v20, v20, s43, 0
	v_mul_f32_e32 v20, v20, v20
	v_fmac_f32_e32 v20, v19, v19
	v_cmp_gt_f32_e32 vcc, s44, v20
	v_mul_f32_e32 v19, 0x4f800000, v20
	v_cndmask_b32_e32 v19, v20, v19, vcc
	v_sqrt_f32_e32 v20, v19
	v_add_u32_e32 v21, -1, v20
	v_fma_f32 v22, -v21, v20, v19
	v_cmp_ge_f32_e64 s[36:37], 0, v22
	v_add_u32_e32 v22, 1, v20
	v_cndmask_b32_e64 v21, v20, v21, s[36:37]
	v_fma_f32 v20, -v22, v20, v19
	v_cmp_lt_f32_e64 s[36:37], 0, v20
	v_cndmask_b32_e64 v20, v21, v22, s[36:37]
	v_mul_f32_e32 v21, 0x37800000, v20
	v_cndmask_b32_e32 v20, v20, v21, vcc
	v_cmp_class_f32_e32 vcc, v19, v16
	v_cndmask_b32_e32 v19, v20, v19, vcc
	v_cmp_nge_f32_e32 vcc, 1.0, v19
	v_add_f32_e32 v19, 1.0, v17
	v_cndmask_b32_e32 v17, v19, v17, vcc
	s_cbranch_scc1 .LBB31_318
; %bb.319:
	v_mul_f32_e32 v16, 4.0, v17
	s_mov_b32 s33, 0x461c4000
	v_div_scale_f32 v17, s[36:37], s33, s33, v16
	v_div_scale_f32 v18, vcc, v16, s33, v16
	v_rcp_f32_e32 v19, v17
	v_fma_f32 v20, -v17, v19, 1.0
	v_fmac_f32_e32 v19, v20, v19
	v_mul_f32_e32 v20, v18, v19
	v_fma_f32 v21, -v17, v20, v18
	v_fmac_f32_e32 v20, v21, v19
	v_fma_f32 v17, -v17, v20, v18
	v_div_fmas_f32 v17, v17, v19, v20
	v_div_fixup_f32 v16, v17, s33, v16
.LBB31_320:
	s_or_b64 exec, exec, s[38:39]
	v_add_f32_e32 v2, v1, v2
	v_cndmask_b32_e64 v1, v1, v2, s[0:1]
	v_add_f32_e32 v2, v3, v1
	v_cndmask_b32_e64 v1, v1, v2, s[2:3]
	;; [unrolled: 2-line block ×15, first 2 shown]
	v_mbcnt_lo_u32_b32 v2, -1, 0
	v_mbcnt_hi_u32_b32 v2, -1, v2
	v_and_b32_e32 v4, 63, v2
	v_cmp_ne_u32_e32 vcc, 63, v4
	v_addc_co_u32_e32 v3, vcc, 0, v2, vcc
	v_lshlrev_b32_e32 v3, 2, v3
	ds_bpermute_b32 v3, v3, v1
	s_min_u32 s8, s40, 0x100
	v_and_b32_e32 v5, 0xc0, v0
	v_sub_u32_e64 v5, s8, v5 clamp
	v_add_u32_e32 v6, 1, v4
	v_cmp_gt_u32_e64 s[0:1], 62, v4
	s_waitcnt lgkmcnt(0)
	v_add_f32_e32 v3, v1, v3
	v_cmp_lt_u32_e32 vcc, v6, v5
	v_cndmask_b32_e64 v6, 0, 2, s[0:1]
	v_cndmask_b32_e32 v3, v1, v3, vcc
	v_add_lshl_u32 v6, v6, v2, 2
	ds_bpermute_b32 v6, v6, v3
	v_add_u32_e32 v7, 2, v4
	v_cmp_lt_u32_e64 s[0:1], v7, v5
	v_add_u32_e32 v7, 4, v4
	s_waitcnt lgkmcnt(0)
	v_add_f32_e32 v6, v3, v6
	v_cndmask_b32_e64 v3, v3, v6, s[0:1]
	v_cmp_gt_u32_e64 s[0:1], 60, v4
	v_cndmask_b32_e64 v6, 0, 4, s[0:1]
	v_add_lshl_u32 v6, v6, v2, 2
	ds_bpermute_b32 v6, v6, v3
	v_cmp_lt_u32_e64 s[0:1], v7, v5
	v_add_u32_e32 v7, 8, v4
	s_waitcnt lgkmcnt(0)
	v_add_f32_e32 v6, v3, v6
	v_cndmask_b32_e64 v3, v3, v6, s[0:1]
	v_cmp_gt_u32_e64 s[0:1], 56, v4
	v_cndmask_b32_e64 v6, 0, 8, s[0:1]
	v_add_lshl_u32 v6, v6, v2, 2
	ds_bpermute_b32 v6, v6, v3
	;; [unrolled: 9-line block ×3, first 2 shown]
	v_cmp_lt_u32_e64 s[0:1], v7, v5
	v_add_u32_e32 v4, 32, v4
	s_waitcnt lgkmcnt(0)
	v_add_f32_e32 v6, v3, v6
	v_cndmask_b32_e64 v6, v3, v6, s[0:1]
	v_lshlrev_b32_e32 v3, 2, v2
	v_or_b32_e32 v7, 0x80, v3
	ds_bpermute_b32 v7, v7, v6
	v_cmp_lt_u32_e64 s[0:1], v4, v5
	s_waitcnt lgkmcnt(0)
	v_add_f32_e32 v7, v6, v7
	v_cndmask_b32_e64 v4, v6, v7, s[0:1]
	v_cndmask_b32_e32 v1, v1, v4, vcc
	v_cmp_eq_u32_e32 vcc, 0, v2
	s_and_saveexec_b64 s[0:1], vcc
; %bb.321:
	v_lshrrev_b32_e32 v4, 4, v0
	v_and_b32_e32 v4, 12, v4
	ds_write_b32 v4, v1 offset:96
; %bb.322:
	s_or_b64 exec, exec, s[0:1]
	v_cmp_gt_u32_e32 vcc, 4, v0
	s_waitcnt lgkmcnt(0)
	s_barrier
	s_and_saveexec_b64 s[2:3], vcc
	s_cbranch_execz .LBB31_324
; %bb.323:
	ds_read_b32 v1, v3 offset:96
	v_and_b32_e32 v4, 3, v2
	v_cmp_ne_u32_e32 vcc, 3, v4
	v_addc_co_u32_e32 v2, vcc, 0, v2, vcc
	v_lshlrev_b32_e32 v2, 2, v2
	s_waitcnt lgkmcnt(0)
	ds_bpermute_b32 v2, v2, v1
	s_add_i32 s8, s8, 63
	s_lshr_b32 s0, s8, 6
	v_add_u32_e32 v5, 1, v4
	v_cmp_gt_u32_e32 vcc, s0, v5
	s_waitcnt lgkmcnt(0)
	v_add_f32_e32 v2, v1, v2
	v_cndmask_b32_e32 v2, v1, v2, vcc
	v_or_b32_e32 v3, 8, v3
	ds_bpermute_b32 v3, v3, v2
	v_add_u32_e32 v4, 2, v4
	v_cmp_gt_u32_e64 s[0:1], s0, v4
	s_waitcnt lgkmcnt(0)
	v_add_f32_e32 v3, v2, v3
	v_cndmask_b32_e64 v2, v2, v3, s[0:1]
	v_cndmask_b32_e32 v1, v1, v2, vcc
.LBB31_324:
	s_or_b64 exec, exec, s[2:3]
.LBB31_325:
	v_cmp_eq_u32_e64 s[0:1], 0, v0
	s_branch .LBB31_350
.LBB31_326:
	s_cmp_eq_u32 s70, 8
	s_cbranch_scc0 .LBB31_349
; %bb.327:
	s_lshl_b32 s10, s6, 11
	s_mov_b32 s7, 0
	s_lshr_b64 s[0:1], s[72:73], 11
	s_add_i32 s22, s71, s10
	s_cmp_lg_u64 s[0:1], s[6:7]
	s_cbranch_scc0 .LBB31_351
; %bb.328:
	v_add_u32_e32 v2, s22, v0
	v_lshlrev_b32_e32 v1, 12, v2
	s_mov_b32 s0, 0x7ed55d16
	v_add3_u32 v1, v2, v1, s0
	v_lshrrev_b32_e32 v3, 19, v1
	v_xor_b32_e32 v1, v1, v3
	v_xor_b32_e32 v1, 0xc761c23c, v1
	v_lshl_add_u32 v1, v1, 5, v1
	v_mov_b32_e32 v4, 0xaccf6200
	v_add_u32_e32 v3, 0xe9f8cc1d, v1
	v_lshl_add_u32 v1, v1, 9, v4
	v_xor_b32_e32 v1, v3, v1
	v_lshlrev_b32_e32 v3, 3, v1
	s_mov_b32 s0, 0xfd7046c5
	v_add3_u32 v1, v1, v3, s0
	v_xor_b32_sdwa v1, v1, v1 dst_sel:DWORD dst_unused:UNUSED_PAD src0_sel:DWORD src1_sel:WORD_1
	v_xor_b32_e32 v3, 0xb55a4f09, v1
	v_mul_hi_u32 v1, v3, 3
	s_brev_b32 s0, -2
	s_movk_i32 s2, 0x2710
	s_mov_b32 s3, 0xbc8f1391
	v_sub_u32_e32 v4, v3, v1
	v_lshrrev_b32_e32 v4, 1, v4
	v_add_u32_e32 v1, v4, v1
	v_lshrrev_b32_e32 v1, 30, v1
	v_mul_lo_u32 v4, v1, s0
	v_mov_b32_e32 v1, 0
	s_mov_b32 s8, 0xbc8f
	s_brev_b32 s9, 12
	v_sub_u32_e32 v3, v3, v4
	v_max_u32_e32 v4, 1, v3
	s_mov_b32 s11, 0xf800000
	v_mov_b32_e32 v3, 0x260
.LBB31_329:                             ; =>This Inner Loop Header: Depth=1
	v_mul_hi_u32 v5, v4, s3
	v_add_f32_e32 v6, 1.0, v1
	s_add_i32 s2, s2, -2
	s_cmp_lg_u32 s2, 0
	v_lshrrev_b32_e32 v5, 15, v5
	v_mul_u32_u24_e32 v7, 0xadc8, v5
	v_sub_u32_e32 v4, v4, v7
	v_mul_lo_u32 v4, v4, s8
	v_mul_u32_u24_e32 v5, 0xd47, v5
	v_xor_b32_e32 v7, 0x7fffffff, v5
	v_sub_u32_e32 v8, 0, v5
	v_cmp_lt_u32_e32 vcc, v4, v5
	v_cndmask_b32_e32 v5, v8, v7, vcc
	v_add_u32_e32 v4, v5, v4
	v_mul_hi_u32 v7, v4, s3
	v_add_u32_e32 v5, -1, v4
	v_cvt_f32_u32_e32 v5, v5
	v_lshrrev_b32_e32 v7, 15, v7
	v_mul_u32_u24_e32 v8, 0xadc8, v7
	v_sub_u32_e32 v4, v4, v8
	v_mul_lo_u32 v4, v4, s8
	v_mul_u32_u24_e32 v7, 0xd47, v7
	v_xor_b32_e32 v8, 0x7fffffff, v7
	v_sub_u32_e32 v9, 0, v7
	v_cmp_lt_u32_e32 vcc, v4, v7
	v_cndmask_b32_e32 v7, v9, v8, vcc
	v_add_u32_e32 v4, v7, v4
	v_mul_hi_u32 v8, v4, s3
	v_add_u32_e32 v7, -1, v4
	v_cvt_f32_u32_e32 v7, v7
	v_fma_f32 v5, v5, s9, 0
	v_lshrrev_b32_e32 v8, 15, v8
	v_mul_u32_u24_e32 v9, 0xadc8, v8
	v_fma_f32 v7, v7, s9, 0
	v_sub_u32_e32 v4, v4, v9
	v_mul_f32_e32 v7, v7, v7
	v_mul_lo_u32 v4, v4, s8
	v_fmac_f32_e32 v7, v5, v5
	v_mul_f32_e32 v5, 0x4f800000, v7
	v_cmp_gt_f32_e32 vcc, s11, v7
	v_mul_u32_u24_e32 v8, 0xd47, v8
	v_cndmask_b32_e32 v5, v7, v5, vcc
	v_xor_b32_e32 v9, 0x7fffffff, v8
	v_sub_u32_e32 v10, 0, v8
	v_sqrt_f32_e32 v7, v5
	v_cmp_lt_u32_e64 s[0:1], v4, v8
	v_cndmask_b32_e64 v8, v10, v9, s[0:1]
	v_add_u32_e32 v4, v8, v4
	v_mul_hi_u32 v9, v4, s3
	v_add_u32_e32 v10, -1, v7
	v_add_u32_e32 v11, 1, v7
	v_fma_f32 v12, -v10, v7, v5
	v_fma_f32 v13, -v11, v7, v5
	v_cmp_ge_f32_e64 s[0:1], 0, v12
	v_cndmask_b32_e64 v7, v7, v10, s[0:1]
	v_cmp_lt_f32_e64 s[0:1], 0, v13
	v_lshrrev_b32_e32 v9, 15, v9
	v_cndmask_b32_e64 v7, v7, v11, s[0:1]
	v_mul_u32_u24_e32 v11, 0xadc8, v9
	v_add_u32_e32 v8, -1, v4
	v_sub_u32_e32 v4, v4, v11
	v_mul_f32_e32 v10, 0x37800000, v7
	v_mul_lo_u32 v4, v4, s8
	v_cndmask_b32_e32 v7, v7, v10, vcc
	v_cmp_class_f32_e32 vcc, v5, v3
	v_cndmask_b32_e32 v5, v7, v5, vcc
	v_mul_u32_u24_e32 v9, 0xd47, v9
	v_cmp_nge_f32_e32 vcc, 1.0, v5
	v_xor_b32_e32 v10, 0x7fffffff, v9
	v_sub_u32_e32 v11, 0, v9
	v_cndmask_b32_e32 v1, v6, v1, vcc
	v_cmp_lt_u32_e32 vcc, v4, v9
	v_cndmask_b32_e32 v6, v11, v10, vcc
	v_add_u32_e32 v4, v6, v4
	v_add_u32_e32 v6, -1, v4
	v_cvt_f32_u32_e32 v6, v6
	v_cvt_f32_u32_e32 v8, v8
	v_add_f32_e32 v5, 1.0, v1
	v_fma_f32 v6, v6, s9, 0
	v_fma_f32 v8, v8, s9, 0
	v_mul_f32_e32 v6, v6, v6
	v_fmac_f32_e32 v6, v8, v8
	v_mul_f32_e32 v7, 0x4f800000, v6
	v_cmp_gt_f32_e32 vcc, s11, v6
	v_cndmask_b32_e32 v6, v6, v7, vcc
	v_sqrt_f32_e32 v7, v6
	v_add_u32_e32 v8, -1, v7
	v_add_u32_e32 v9, 1, v7
	v_fma_f32 v10, -v8, v7, v6
	v_fma_f32 v11, -v9, v7, v6
	v_cmp_ge_f32_e64 s[0:1], 0, v10
	v_cndmask_b32_e64 v7, v7, v8, s[0:1]
	v_cmp_lt_f32_e64 s[0:1], 0, v11
	v_cndmask_b32_e64 v7, v7, v9, s[0:1]
	v_mul_f32_e32 v8, 0x37800000, v7
	v_cndmask_b32_e32 v7, v7, v8, vcc
	v_cmp_class_f32_e32 vcc, v6, v3
	v_cndmask_b32_e32 v6, v7, v6, vcc
	v_cmp_nge_f32_e32 vcc, 1.0, v6
	v_cndmask_b32_e32 v1, v5, v1, vcc
	s_cbranch_scc1 .LBB31_329
; %bb.330:
	v_lshl_add_u32 v3, v2, 12, v2
	v_add_u32_e32 v2, 0x7ee55e16, v3
	v_lshrrev_b32_e32 v4, 19, v2
	v_xor_b32_e32 v2, v2, v4
	v_xor_b32_e32 v2, 0xc761c23c, v2
	v_lshl_add_u32 v2, v2, 5, v2
	v_mov_b32_e32 v5, 0xaccf6200
	v_add_u32_e32 v4, 0xe9f8cc1d, v2
	v_lshl_add_u32 v2, v2, 9, v5
	v_xor_b32_e32 v2, v4, v2
	v_lshlrev_b32_e32 v4, 3, v2
	s_mov_b32 s0, 0xfd7046c5
	v_add3_u32 v2, v2, v4, s0
	v_xor_b32_sdwa v2, v2, v2 dst_sel:DWORD dst_unused:UNUSED_PAD src0_sel:DWORD src1_sel:WORD_1
	v_xor_b32_e32 v4, 0xb55a4f09, v2
	v_mul_hi_u32 v2, v4, 3
	s_brev_b32 s0, -2
	s_movk_i32 s2, 0x2710
	s_mov_b32 s3, 0xbc8f1391
	v_sub_u32_e32 v5, v4, v2
	v_lshrrev_b32_e32 v5, 1, v5
	v_add_u32_e32 v2, v5, v2
	v_lshrrev_b32_e32 v2, 30, v2
	v_mul_lo_u32 v5, v2, s0
	v_mov_b32_e32 v2, 0
	s_mov_b32 s8, 0xbc8f
	s_brev_b32 s9, 12
	v_sub_u32_e32 v4, v4, v5
	v_max_u32_e32 v5, 1, v4
	s_mov_b32 s11, 0xf800000
	v_mov_b32_e32 v4, 0x260
.LBB31_331:                             ; =>This Inner Loop Header: Depth=1
	v_mul_hi_u32 v6, v5, s3
	v_add_f32_e32 v7, 1.0, v2
	s_add_i32 s2, s2, -2
	s_cmp_lg_u32 s2, 0
	v_lshrrev_b32_e32 v6, 15, v6
	v_mul_u32_u24_e32 v8, 0xadc8, v6
	v_sub_u32_e32 v5, v5, v8
	v_mul_lo_u32 v5, v5, s8
	v_mul_u32_u24_e32 v6, 0xd47, v6
	v_xor_b32_e32 v8, 0x7fffffff, v6
	v_sub_u32_e32 v9, 0, v6
	v_cmp_lt_u32_e32 vcc, v5, v6
	v_cndmask_b32_e32 v6, v9, v8, vcc
	v_add_u32_e32 v5, v6, v5
	v_mul_hi_u32 v8, v5, s3
	v_add_u32_e32 v6, -1, v5
	v_cvt_f32_u32_e32 v6, v6
	v_lshrrev_b32_e32 v8, 15, v8
	v_mul_u32_u24_e32 v9, 0xadc8, v8
	v_sub_u32_e32 v5, v5, v9
	v_mul_lo_u32 v5, v5, s8
	v_mul_u32_u24_e32 v8, 0xd47, v8
	v_xor_b32_e32 v9, 0x7fffffff, v8
	v_sub_u32_e32 v10, 0, v8
	v_cmp_lt_u32_e32 vcc, v5, v8
	v_cndmask_b32_e32 v8, v10, v9, vcc
	v_add_u32_e32 v5, v8, v5
	v_mul_hi_u32 v9, v5, s3
	v_add_u32_e32 v8, -1, v5
	v_cvt_f32_u32_e32 v8, v8
	v_fma_f32 v6, v6, s9, 0
	v_lshrrev_b32_e32 v9, 15, v9
	v_mul_u32_u24_e32 v10, 0xadc8, v9
	v_fma_f32 v8, v8, s9, 0
	v_sub_u32_e32 v5, v5, v10
	v_mul_f32_e32 v8, v8, v8
	v_mul_lo_u32 v5, v5, s8
	v_fmac_f32_e32 v8, v6, v6
	v_mul_f32_e32 v6, 0x4f800000, v8
	v_cmp_gt_f32_e32 vcc, s11, v8
	v_mul_u32_u24_e32 v9, 0xd47, v9
	v_cndmask_b32_e32 v6, v8, v6, vcc
	v_xor_b32_e32 v10, 0x7fffffff, v9
	v_sub_u32_e32 v11, 0, v9
	v_sqrt_f32_e32 v8, v6
	v_cmp_lt_u32_e64 s[0:1], v5, v9
	v_cndmask_b32_e64 v9, v11, v10, s[0:1]
	v_add_u32_e32 v5, v9, v5
	v_mul_hi_u32 v10, v5, s3
	v_add_u32_e32 v11, -1, v8
	v_add_u32_e32 v12, 1, v8
	v_fma_f32 v13, -v11, v8, v6
	v_fma_f32 v14, -v12, v8, v6
	v_cmp_ge_f32_e64 s[0:1], 0, v13
	v_cndmask_b32_e64 v8, v8, v11, s[0:1]
	v_cmp_lt_f32_e64 s[0:1], 0, v14
	v_lshrrev_b32_e32 v10, 15, v10
	v_cndmask_b32_e64 v8, v8, v12, s[0:1]
	v_mul_u32_u24_e32 v12, 0xadc8, v10
	v_add_u32_e32 v9, -1, v5
	v_sub_u32_e32 v5, v5, v12
	v_mul_f32_e32 v11, 0x37800000, v8
	v_mul_lo_u32 v5, v5, s8
	v_cndmask_b32_e32 v8, v8, v11, vcc
	v_cmp_class_f32_e32 vcc, v6, v4
	v_cndmask_b32_e32 v6, v8, v6, vcc
	v_mul_u32_u24_e32 v10, 0xd47, v10
	v_cmp_nge_f32_e32 vcc, 1.0, v6
	v_xor_b32_e32 v11, 0x7fffffff, v10
	v_sub_u32_e32 v12, 0, v10
	v_cndmask_b32_e32 v2, v7, v2, vcc
	v_cmp_lt_u32_e32 vcc, v5, v10
	v_cndmask_b32_e32 v7, v12, v11, vcc
	v_add_u32_e32 v5, v7, v5
	v_add_u32_e32 v7, -1, v5
	v_cvt_f32_u32_e32 v7, v7
	v_cvt_f32_u32_e32 v9, v9
	v_add_f32_e32 v6, 1.0, v2
	v_fma_f32 v7, v7, s9, 0
	v_fma_f32 v9, v9, s9, 0
	v_mul_f32_e32 v7, v7, v7
	v_fmac_f32_e32 v7, v9, v9
	v_mul_f32_e32 v8, 0x4f800000, v7
	v_cmp_gt_f32_e32 vcc, s11, v7
	v_cndmask_b32_e32 v7, v7, v8, vcc
	v_sqrt_f32_e32 v8, v7
	v_add_u32_e32 v9, -1, v8
	v_add_u32_e32 v10, 1, v8
	v_fma_f32 v11, -v9, v8, v7
	v_fma_f32 v12, -v10, v8, v7
	v_cmp_ge_f32_e64 s[0:1], 0, v11
	v_cndmask_b32_e64 v8, v8, v9, s[0:1]
	v_cmp_lt_f32_e64 s[0:1], 0, v12
	v_cndmask_b32_e64 v8, v8, v10, s[0:1]
	v_mul_f32_e32 v9, 0x37800000, v8
	v_cndmask_b32_e32 v8, v8, v9, vcc
	v_cmp_class_f32_e32 vcc, v7, v4
	v_cndmask_b32_e32 v7, v8, v7, vcc
	v_cmp_nge_f32_e32 vcc, 1.0, v7
	v_cndmask_b32_e32 v2, v6, v2, vcc
	s_cbranch_scc1 .LBB31_331
; %bb.332:
	v_add_u32_e32 v4, 0x7ef55f16, v3
	v_lshrrev_b32_e32 v5, 19, v4
	v_xor_b32_e32 v4, v4, v5
	v_xor_b32_e32 v4, 0xc761c23c, v4
	v_lshl_add_u32 v4, v4, 5, v4
	v_mov_b32_e32 v6, 0xaccf6200
	v_add_u32_e32 v5, 0xe9f8cc1d, v4
	v_lshl_add_u32 v4, v4, 9, v6
	v_xor_b32_e32 v4, v5, v4
	v_lshlrev_b32_e32 v5, 3, v4
	s_mov_b32 s0, 0xfd7046c5
	v_add3_u32 v4, v4, v5, s0
	v_xor_b32_sdwa v4, v4, v4 dst_sel:DWORD dst_unused:UNUSED_PAD src0_sel:DWORD src1_sel:WORD_1
	v_xor_b32_e32 v5, 0xb55a4f09, v4
	v_mul_hi_u32 v4, v5, 3
	s_brev_b32 s0, -2
	s_movk_i32 s2, 0x2710
	s_mov_b32 s3, 0xbc8f1391
	v_sub_u32_e32 v6, v5, v4
	v_lshrrev_b32_e32 v6, 1, v6
	v_add_u32_e32 v4, v6, v4
	v_lshrrev_b32_e32 v4, 30, v4
	v_mul_lo_u32 v6, v4, s0
	v_mov_b32_e32 v4, 0
	s_mov_b32 s8, 0xbc8f
	s_brev_b32 s9, 12
	v_sub_u32_e32 v5, v5, v6
	v_max_u32_e32 v6, 1, v5
	s_mov_b32 s11, 0xf800000
	v_mov_b32_e32 v5, 0x260
.LBB31_333:                             ; =>This Inner Loop Header: Depth=1
	v_mul_hi_u32 v7, v6, s3
	v_add_f32_e32 v8, 1.0, v4
	s_add_i32 s2, s2, -2
	s_cmp_lg_u32 s2, 0
	v_lshrrev_b32_e32 v7, 15, v7
	v_mul_u32_u24_e32 v9, 0xadc8, v7
	v_sub_u32_e32 v6, v6, v9
	v_mul_lo_u32 v6, v6, s8
	v_mul_u32_u24_e32 v7, 0xd47, v7
	v_xor_b32_e32 v9, 0x7fffffff, v7
	v_sub_u32_e32 v10, 0, v7
	v_cmp_lt_u32_e32 vcc, v6, v7
	v_cndmask_b32_e32 v7, v10, v9, vcc
	v_add_u32_e32 v6, v7, v6
	v_mul_hi_u32 v9, v6, s3
	v_add_u32_e32 v7, -1, v6
	v_cvt_f32_u32_e32 v7, v7
	v_lshrrev_b32_e32 v9, 15, v9
	v_mul_u32_u24_e32 v10, 0xadc8, v9
	v_sub_u32_e32 v6, v6, v10
	v_mul_lo_u32 v6, v6, s8
	v_mul_u32_u24_e32 v9, 0xd47, v9
	v_xor_b32_e32 v10, 0x7fffffff, v9
	v_sub_u32_e32 v11, 0, v9
	v_cmp_lt_u32_e32 vcc, v6, v9
	v_cndmask_b32_e32 v9, v11, v10, vcc
	v_add_u32_e32 v6, v9, v6
	v_mul_hi_u32 v10, v6, s3
	v_add_u32_e32 v9, -1, v6
	v_cvt_f32_u32_e32 v9, v9
	v_fma_f32 v7, v7, s9, 0
	v_lshrrev_b32_e32 v10, 15, v10
	v_mul_u32_u24_e32 v11, 0xadc8, v10
	v_fma_f32 v9, v9, s9, 0
	v_sub_u32_e32 v6, v6, v11
	v_mul_f32_e32 v9, v9, v9
	v_mul_lo_u32 v6, v6, s8
	v_fmac_f32_e32 v9, v7, v7
	v_mul_f32_e32 v7, 0x4f800000, v9
	v_cmp_gt_f32_e32 vcc, s11, v9
	v_mul_u32_u24_e32 v10, 0xd47, v10
	v_cndmask_b32_e32 v7, v9, v7, vcc
	v_xor_b32_e32 v11, 0x7fffffff, v10
	v_sub_u32_e32 v12, 0, v10
	v_sqrt_f32_e32 v9, v7
	v_cmp_lt_u32_e64 s[0:1], v6, v10
	v_cndmask_b32_e64 v10, v12, v11, s[0:1]
	v_add_u32_e32 v6, v10, v6
	v_mul_hi_u32 v11, v6, s3
	v_add_u32_e32 v12, -1, v9
	v_add_u32_e32 v13, 1, v9
	v_fma_f32 v14, -v12, v9, v7
	v_fma_f32 v15, -v13, v9, v7
	v_cmp_ge_f32_e64 s[0:1], 0, v14
	v_cndmask_b32_e64 v9, v9, v12, s[0:1]
	v_cmp_lt_f32_e64 s[0:1], 0, v15
	v_lshrrev_b32_e32 v11, 15, v11
	v_cndmask_b32_e64 v9, v9, v13, s[0:1]
	v_mul_u32_u24_e32 v13, 0xadc8, v11
	v_add_u32_e32 v10, -1, v6
	v_sub_u32_e32 v6, v6, v13
	v_mul_f32_e32 v12, 0x37800000, v9
	v_mul_lo_u32 v6, v6, s8
	v_cndmask_b32_e32 v9, v9, v12, vcc
	v_cmp_class_f32_e32 vcc, v7, v5
	v_cndmask_b32_e32 v7, v9, v7, vcc
	v_mul_u32_u24_e32 v11, 0xd47, v11
	v_cmp_nge_f32_e32 vcc, 1.0, v7
	v_xor_b32_e32 v12, 0x7fffffff, v11
	v_sub_u32_e32 v13, 0, v11
	v_cndmask_b32_e32 v4, v8, v4, vcc
	v_cmp_lt_u32_e32 vcc, v6, v11
	v_cndmask_b32_e32 v8, v13, v12, vcc
	v_add_u32_e32 v6, v8, v6
	v_add_u32_e32 v8, -1, v6
	v_cvt_f32_u32_e32 v8, v8
	v_cvt_f32_u32_e32 v10, v10
	v_add_f32_e32 v7, 1.0, v4
	v_fma_f32 v8, v8, s9, 0
	v_fma_f32 v10, v10, s9, 0
	v_mul_f32_e32 v8, v8, v8
	v_fmac_f32_e32 v8, v10, v10
	v_mul_f32_e32 v9, 0x4f800000, v8
	v_cmp_gt_f32_e32 vcc, s11, v8
	v_cndmask_b32_e32 v8, v8, v9, vcc
	v_sqrt_f32_e32 v9, v8
	v_add_u32_e32 v10, -1, v9
	v_add_u32_e32 v11, 1, v9
	v_fma_f32 v12, -v10, v9, v8
	v_fma_f32 v13, -v11, v9, v8
	v_cmp_ge_f32_e64 s[0:1], 0, v12
	v_cndmask_b32_e64 v9, v9, v10, s[0:1]
	v_cmp_lt_f32_e64 s[0:1], 0, v13
	v_cndmask_b32_e64 v9, v9, v11, s[0:1]
	v_mul_f32_e32 v10, 0x37800000, v9
	v_cndmask_b32_e32 v9, v9, v10, vcc
	v_cmp_class_f32_e32 vcc, v8, v5
	v_cndmask_b32_e32 v8, v9, v8, vcc
	v_cmp_nge_f32_e32 vcc, 1.0, v8
	v_cndmask_b32_e32 v4, v7, v4, vcc
	s_cbranch_scc1 .LBB31_333
; %bb.334:
	v_add_u32_e32 v5, 0x7f056016, v3
	v_lshrrev_b32_e32 v6, 19, v5
	v_xor_b32_e32 v5, v5, v6
	v_xor_b32_e32 v5, 0xc761c23c, v5
	v_lshl_add_u32 v5, v5, 5, v5
	v_mov_b32_e32 v7, 0xaccf6200
	v_add_u32_e32 v6, 0xe9f8cc1d, v5
	v_lshl_add_u32 v5, v5, 9, v7
	v_xor_b32_e32 v5, v6, v5
	v_lshlrev_b32_e32 v6, 3, v5
	s_mov_b32 s0, 0xfd7046c5
	v_add3_u32 v5, v5, v6, s0
	v_xor_b32_sdwa v5, v5, v5 dst_sel:DWORD dst_unused:UNUSED_PAD src0_sel:DWORD src1_sel:WORD_1
	v_xor_b32_e32 v6, 0xb55a4f09, v5
	v_mul_hi_u32 v5, v6, 3
	s_brev_b32 s0, -2
	s_movk_i32 s2, 0x2710
	s_mov_b32 s3, 0xbc8f1391
	v_sub_u32_e32 v7, v6, v5
	v_lshrrev_b32_e32 v7, 1, v7
	v_add_u32_e32 v5, v7, v5
	v_lshrrev_b32_e32 v5, 30, v5
	v_mul_lo_u32 v7, v5, s0
	v_mov_b32_e32 v5, 0
	s_mov_b32 s8, 0xbc8f
	s_brev_b32 s9, 12
	v_sub_u32_e32 v6, v6, v7
	v_max_u32_e32 v7, 1, v6
	s_mov_b32 s11, 0xf800000
	v_mov_b32_e32 v6, 0x260
.LBB31_335:                             ; =>This Inner Loop Header: Depth=1
	v_mul_hi_u32 v8, v7, s3
	v_add_f32_e32 v9, 1.0, v5
	s_add_i32 s2, s2, -2
	s_cmp_lg_u32 s2, 0
	v_lshrrev_b32_e32 v8, 15, v8
	v_mul_u32_u24_e32 v10, 0xadc8, v8
	v_sub_u32_e32 v7, v7, v10
	v_mul_lo_u32 v7, v7, s8
	v_mul_u32_u24_e32 v8, 0xd47, v8
	v_xor_b32_e32 v10, 0x7fffffff, v8
	v_sub_u32_e32 v11, 0, v8
	v_cmp_lt_u32_e32 vcc, v7, v8
	v_cndmask_b32_e32 v8, v11, v10, vcc
	v_add_u32_e32 v7, v8, v7
	v_mul_hi_u32 v10, v7, s3
	v_add_u32_e32 v8, -1, v7
	v_cvt_f32_u32_e32 v8, v8
	v_lshrrev_b32_e32 v10, 15, v10
	v_mul_u32_u24_e32 v11, 0xadc8, v10
	v_sub_u32_e32 v7, v7, v11
	v_mul_lo_u32 v7, v7, s8
	v_mul_u32_u24_e32 v10, 0xd47, v10
	v_xor_b32_e32 v11, 0x7fffffff, v10
	v_sub_u32_e32 v12, 0, v10
	v_cmp_lt_u32_e32 vcc, v7, v10
	v_cndmask_b32_e32 v10, v12, v11, vcc
	v_add_u32_e32 v7, v10, v7
	v_mul_hi_u32 v11, v7, s3
	v_add_u32_e32 v10, -1, v7
	v_cvt_f32_u32_e32 v10, v10
	v_fma_f32 v8, v8, s9, 0
	v_lshrrev_b32_e32 v11, 15, v11
	v_mul_u32_u24_e32 v12, 0xadc8, v11
	v_fma_f32 v10, v10, s9, 0
	v_sub_u32_e32 v7, v7, v12
	v_mul_f32_e32 v10, v10, v10
	v_mul_lo_u32 v7, v7, s8
	v_fmac_f32_e32 v10, v8, v8
	v_mul_f32_e32 v8, 0x4f800000, v10
	v_cmp_gt_f32_e32 vcc, s11, v10
	v_mul_u32_u24_e32 v11, 0xd47, v11
	v_cndmask_b32_e32 v8, v10, v8, vcc
	v_xor_b32_e32 v12, 0x7fffffff, v11
	v_sub_u32_e32 v13, 0, v11
	v_sqrt_f32_e32 v10, v8
	v_cmp_lt_u32_e64 s[0:1], v7, v11
	v_cndmask_b32_e64 v11, v13, v12, s[0:1]
	v_add_u32_e32 v7, v11, v7
	v_mul_hi_u32 v12, v7, s3
	v_add_u32_e32 v13, -1, v10
	v_add_u32_e32 v14, 1, v10
	v_fma_f32 v15, -v13, v10, v8
	v_fma_f32 v16, -v14, v10, v8
	v_cmp_ge_f32_e64 s[0:1], 0, v15
	v_cndmask_b32_e64 v10, v10, v13, s[0:1]
	v_cmp_lt_f32_e64 s[0:1], 0, v16
	v_lshrrev_b32_e32 v12, 15, v12
	v_cndmask_b32_e64 v10, v10, v14, s[0:1]
	v_mul_u32_u24_e32 v14, 0xadc8, v12
	v_add_u32_e32 v11, -1, v7
	v_sub_u32_e32 v7, v7, v14
	v_mul_f32_e32 v13, 0x37800000, v10
	v_mul_lo_u32 v7, v7, s8
	v_cndmask_b32_e32 v10, v10, v13, vcc
	v_cmp_class_f32_e32 vcc, v8, v6
	v_cndmask_b32_e32 v8, v10, v8, vcc
	v_mul_u32_u24_e32 v12, 0xd47, v12
	v_cmp_nge_f32_e32 vcc, 1.0, v8
	v_xor_b32_e32 v13, 0x7fffffff, v12
	v_sub_u32_e32 v14, 0, v12
	v_cndmask_b32_e32 v5, v9, v5, vcc
	v_cmp_lt_u32_e32 vcc, v7, v12
	v_cndmask_b32_e32 v9, v14, v13, vcc
	v_add_u32_e32 v7, v9, v7
	v_add_u32_e32 v9, -1, v7
	v_cvt_f32_u32_e32 v9, v9
	v_cvt_f32_u32_e32 v11, v11
	v_add_f32_e32 v8, 1.0, v5
	v_fma_f32 v9, v9, s9, 0
	v_fma_f32 v11, v11, s9, 0
	v_mul_f32_e32 v9, v9, v9
	v_fmac_f32_e32 v9, v11, v11
	v_mul_f32_e32 v10, 0x4f800000, v9
	v_cmp_gt_f32_e32 vcc, s11, v9
	v_cndmask_b32_e32 v9, v9, v10, vcc
	v_sqrt_f32_e32 v10, v9
	v_add_u32_e32 v11, -1, v10
	v_add_u32_e32 v12, 1, v10
	v_fma_f32 v13, -v11, v10, v9
	v_fma_f32 v14, -v12, v10, v9
	v_cmp_ge_f32_e64 s[0:1], 0, v13
	v_cndmask_b32_e64 v10, v10, v11, s[0:1]
	v_cmp_lt_f32_e64 s[0:1], 0, v14
	v_cndmask_b32_e64 v10, v10, v12, s[0:1]
	v_mul_f32_e32 v11, 0x37800000, v10
	v_cndmask_b32_e32 v10, v10, v11, vcc
	v_cmp_class_f32_e32 vcc, v9, v6
	v_cndmask_b32_e32 v9, v10, v9, vcc
	v_cmp_nge_f32_e32 vcc, 1.0, v9
	v_cndmask_b32_e32 v5, v8, v5, vcc
	s_cbranch_scc1 .LBB31_335
; %bb.336:
	v_add_u32_e32 v6, 0x7f156116, v3
	v_lshrrev_b32_e32 v7, 19, v6
	v_xor_b32_e32 v6, v6, v7
	v_xor_b32_e32 v6, 0xc761c23c, v6
	v_lshl_add_u32 v6, v6, 5, v6
	v_mov_b32_e32 v8, 0xaccf6200
	v_add_u32_e32 v7, 0xe9f8cc1d, v6
	v_lshl_add_u32 v6, v6, 9, v8
	v_xor_b32_e32 v6, v7, v6
	v_lshlrev_b32_e32 v7, 3, v6
	s_mov_b32 s0, 0xfd7046c5
	v_add3_u32 v6, v6, v7, s0
	v_xor_b32_sdwa v6, v6, v6 dst_sel:DWORD dst_unused:UNUSED_PAD src0_sel:DWORD src1_sel:WORD_1
	v_xor_b32_e32 v7, 0xb55a4f09, v6
	v_mul_hi_u32 v6, v7, 3
	s_brev_b32 s0, -2
	s_movk_i32 s2, 0x2710
	s_mov_b32 s3, 0xbc8f1391
	v_sub_u32_e32 v8, v7, v6
	v_lshrrev_b32_e32 v8, 1, v8
	v_add_u32_e32 v6, v8, v6
	v_lshrrev_b32_e32 v6, 30, v6
	v_mul_lo_u32 v8, v6, s0
	v_mov_b32_e32 v6, 0
	s_mov_b32 s8, 0xbc8f
	s_brev_b32 s9, 12
	v_sub_u32_e32 v7, v7, v8
	v_max_u32_e32 v8, 1, v7
	s_mov_b32 s11, 0xf800000
	v_mov_b32_e32 v7, 0x260
.LBB31_337:                             ; =>This Inner Loop Header: Depth=1
	v_mul_hi_u32 v9, v8, s3
	v_add_f32_e32 v10, 1.0, v6
	s_add_i32 s2, s2, -2
	s_cmp_lg_u32 s2, 0
	v_lshrrev_b32_e32 v9, 15, v9
	v_mul_u32_u24_e32 v11, 0xadc8, v9
	v_sub_u32_e32 v8, v8, v11
	v_mul_lo_u32 v8, v8, s8
	v_mul_u32_u24_e32 v9, 0xd47, v9
	v_xor_b32_e32 v11, 0x7fffffff, v9
	v_sub_u32_e32 v12, 0, v9
	v_cmp_lt_u32_e32 vcc, v8, v9
	v_cndmask_b32_e32 v9, v12, v11, vcc
	v_add_u32_e32 v8, v9, v8
	v_mul_hi_u32 v11, v8, s3
	v_add_u32_e32 v9, -1, v8
	v_cvt_f32_u32_e32 v9, v9
	v_lshrrev_b32_e32 v11, 15, v11
	v_mul_u32_u24_e32 v12, 0xadc8, v11
	v_sub_u32_e32 v8, v8, v12
	v_mul_lo_u32 v8, v8, s8
	v_mul_u32_u24_e32 v11, 0xd47, v11
	v_xor_b32_e32 v12, 0x7fffffff, v11
	v_sub_u32_e32 v13, 0, v11
	v_cmp_lt_u32_e32 vcc, v8, v11
	v_cndmask_b32_e32 v11, v13, v12, vcc
	v_add_u32_e32 v8, v11, v8
	v_mul_hi_u32 v12, v8, s3
	v_add_u32_e32 v11, -1, v8
	v_cvt_f32_u32_e32 v11, v11
	v_fma_f32 v9, v9, s9, 0
	v_lshrrev_b32_e32 v12, 15, v12
	v_mul_u32_u24_e32 v13, 0xadc8, v12
	v_fma_f32 v11, v11, s9, 0
	v_sub_u32_e32 v8, v8, v13
	v_mul_f32_e32 v11, v11, v11
	v_mul_lo_u32 v8, v8, s8
	v_fmac_f32_e32 v11, v9, v9
	v_mul_f32_e32 v9, 0x4f800000, v11
	v_cmp_gt_f32_e32 vcc, s11, v11
	v_mul_u32_u24_e32 v12, 0xd47, v12
	v_cndmask_b32_e32 v9, v11, v9, vcc
	v_xor_b32_e32 v13, 0x7fffffff, v12
	v_sub_u32_e32 v14, 0, v12
	v_sqrt_f32_e32 v11, v9
	v_cmp_lt_u32_e64 s[0:1], v8, v12
	v_cndmask_b32_e64 v12, v14, v13, s[0:1]
	v_add_u32_e32 v8, v12, v8
	v_mul_hi_u32 v13, v8, s3
	v_add_u32_e32 v14, -1, v11
	v_add_u32_e32 v15, 1, v11
	v_fma_f32 v16, -v14, v11, v9
	v_fma_f32 v17, -v15, v11, v9
	v_cmp_ge_f32_e64 s[0:1], 0, v16
	v_cndmask_b32_e64 v11, v11, v14, s[0:1]
	v_cmp_lt_f32_e64 s[0:1], 0, v17
	v_lshrrev_b32_e32 v13, 15, v13
	v_cndmask_b32_e64 v11, v11, v15, s[0:1]
	v_mul_u32_u24_e32 v15, 0xadc8, v13
	v_add_u32_e32 v12, -1, v8
	v_sub_u32_e32 v8, v8, v15
	v_mul_f32_e32 v14, 0x37800000, v11
	v_mul_lo_u32 v8, v8, s8
	v_cndmask_b32_e32 v11, v11, v14, vcc
	v_cmp_class_f32_e32 vcc, v9, v7
	v_cndmask_b32_e32 v9, v11, v9, vcc
	v_mul_u32_u24_e32 v13, 0xd47, v13
	v_cmp_nge_f32_e32 vcc, 1.0, v9
	v_xor_b32_e32 v14, 0x7fffffff, v13
	v_sub_u32_e32 v15, 0, v13
	v_cndmask_b32_e32 v6, v10, v6, vcc
	v_cmp_lt_u32_e32 vcc, v8, v13
	v_cndmask_b32_e32 v10, v15, v14, vcc
	v_add_u32_e32 v8, v10, v8
	v_add_u32_e32 v10, -1, v8
	v_cvt_f32_u32_e32 v10, v10
	v_cvt_f32_u32_e32 v12, v12
	v_add_f32_e32 v9, 1.0, v6
	v_fma_f32 v10, v10, s9, 0
	v_fma_f32 v12, v12, s9, 0
	v_mul_f32_e32 v10, v10, v10
	v_fmac_f32_e32 v10, v12, v12
	v_mul_f32_e32 v11, 0x4f800000, v10
	v_cmp_gt_f32_e32 vcc, s11, v10
	v_cndmask_b32_e32 v10, v10, v11, vcc
	v_sqrt_f32_e32 v11, v10
	v_add_u32_e32 v12, -1, v11
	v_add_u32_e32 v13, 1, v11
	v_fma_f32 v14, -v12, v11, v10
	v_fma_f32 v15, -v13, v11, v10
	v_cmp_ge_f32_e64 s[0:1], 0, v14
	v_cndmask_b32_e64 v11, v11, v12, s[0:1]
	v_cmp_lt_f32_e64 s[0:1], 0, v15
	v_cndmask_b32_e64 v11, v11, v13, s[0:1]
	v_mul_f32_e32 v12, 0x37800000, v11
	v_cndmask_b32_e32 v11, v11, v12, vcc
	v_cmp_class_f32_e32 vcc, v10, v7
	v_cndmask_b32_e32 v10, v11, v10, vcc
	v_cmp_nge_f32_e32 vcc, 1.0, v10
	v_cndmask_b32_e32 v6, v9, v6, vcc
	s_cbranch_scc1 .LBB31_337
; %bb.338:
	v_add_u32_e32 v7, 0x7f256216, v3
	v_lshrrev_b32_e32 v8, 19, v7
	v_xor_b32_e32 v7, v7, v8
	v_xor_b32_e32 v7, 0xc761c23c, v7
	v_lshl_add_u32 v7, v7, 5, v7
	v_mov_b32_e32 v9, 0xaccf6200
	v_add_u32_e32 v8, 0xe9f8cc1d, v7
	v_lshl_add_u32 v7, v7, 9, v9
	v_xor_b32_e32 v7, v8, v7
	v_lshlrev_b32_e32 v8, 3, v7
	s_mov_b32 s0, 0xfd7046c5
	v_add3_u32 v7, v7, v8, s0
	v_xor_b32_sdwa v7, v7, v7 dst_sel:DWORD dst_unused:UNUSED_PAD src0_sel:DWORD src1_sel:WORD_1
	v_xor_b32_e32 v8, 0xb55a4f09, v7
	v_mul_hi_u32 v7, v8, 3
	s_brev_b32 s0, -2
	s_movk_i32 s2, 0x2710
	s_mov_b32 s3, 0xbc8f1391
	v_sub_u32_e32 v9, v8, v7
	v_lshrrev_b32_e32 v9, 1, v9
	v_add_u32_e32 v7, v9, v7
	v_lshrrev_b32_e32 v7, 30, v7
	v_mul_lo_u32 v9, v7, s0
	v_mov_b32_e32 v7, 0
	s_mov_b32 s8, 0xbc8f
	s_brev_b32 s9, 12
	v_sub_u32_e32 v8, v8, v9
	v_max_u32_e32 v9, 1, v8
	s_mov_b32 s11, 0xf800000
	v_mov_b32_e32 v8, 0x260
.LBB31_339:                             ; =>This Inner Loop Header: Depth=1
	v_mul_hi_u32 v10, v9, s3
	v_add_f32_e32 v11, 1.0, v7
	s_add_i32 s2, s2, -2
	s_cmp_lg_u32 s2, 0
	v_lshrrev_b32_e32 v10, 15, v10
	v_mul_u32_u24_e32 v12, 0xadc8, v10
	v_sub_u32_e32 v9, v9, v12
	v_mul_lo_u32 v9, v9, s8
	v_mul_u32_u24_e32 v10, 0xd47, v10
	v_xor_b32_e32 v12, 0x7fffffff, v10
	v_sub_u32_e32 v13, 0, v10
	v_cmp_lt_u32_e32 vcc, v9, v10
	v_cndmask_b32_e32 v10, v13, v12, vcc
	v_add_u32_e32 v9, v10, v9
	v_mul_hi_u32 v12, v9, s3
	v_add_u32_e32 v10, -1, v9
	v_cvt_f32_u32_e32 v10, v10
	v_lshrrev_b32_e32 v12, 15, v12
	v_mul_u32_u24_e32 v13, 0xadc8, v12
	v_sub_u32_e32 v9, v9, v13
	v_mul_lo_u32 v9, v9, s8
	v_mul_u32_u24_e32 v12, 0xd47, v12
	v_xor_b32_e32 v13, 0x7fffffff, v12
	v_sub_u32_e32 v14, 0, v12
	v_cmp_lt_u32_e32 vcc, v9, v12
	v_cndmask_b32_e32 v12, v14, v13, vcc
	v_add_u32_e32 v9, v12, v9
	v_mul_hi_u32 v13, v9, s3
	v_add_u32_e32 v12, -1, v9
	v_cvt_f32_u32_e32 v12, v12
	v_fma_f32 v10, v10, s9, 0
	v_lshrrev_b32_e32 v13, 15, v13
	v_mul_u32_u24_e32 v14, 0xadc8, v13
	v_fma_f32 v12, v12, s9, 0
	v_sub_u32_e32 v9, v9, v14
	v_mul_f32_e32 v12, v12, v12
	v_mul_lo_u32 v9, v9, s8
	v_fmac_f32_e32 v12, v10, v10
	v_mul_f32_e32 v10, 0x4f800000, v12
	v_cmp_gt_f32_e32 vcc, s11, v12
	v_mul_u32_u24_e32 v13, 0xd47, v13
	v_cndmask_b32_e32 v10, v12, v10, vcc
	v_xor_b32_e32 v14, 0x7fffffff, v13
	v_sub_u32_e32 v15, 0, v13
	v_sqrt_f32_e32 v12, v10
	v_cmp_lt_u32_e64 s[0:1], v9, v13
	v_cndmask_b32_e64 v13, v15, v14, s[0:1]
	v_add_u32_e32 v9, v13, v9
	v_mul_hi_u32 v14, v9, s3
	v_add_u32_e32 v15, -1, v12
	v_add_u32_e32 v16, 1, v12
	v_fma_f32 v17, -v15, v12, v10
	v_fma_f32 v18, -v16, v12, v10
	v_cmp_ge_f32_e64 s[0:1], 0, v17
	v_cndmask_b32_e64 v12, v12, v15, s[0:1]
	v_cmp_lt_f32_e64 s[0:1], 0, v18
	v_lshrrev_b32_e32 v14, 15, v14
	v_cndmask_b32_e64 v12, v12, v16, s[0:1]
	v_mul_u32_u24_e32 v16, 0xadc8, v14
	v_add_u32_e32 v13, -1, v9
	v_sub_u32_e32 v9, v9, v16
	v_mul_f32_e32 v15, 0x37800000, v12
	v_mul_lo_u32 v9, v9, s8
	v_cndmask_b32_e32 v12, v12, v15, vcc
	v_cmp_class_f32_e32 vcc, v10, v8
	v_cndmask_b32_e32 v10, v12, v10, vcc
	v_mul_u32_u24_e32 v14, 0xd47, v14
	v_cmp_nge_f32_e32 vcc, 1.0, v10
	v_xor_b32_e32 v15, 0x7fffffff, v14
	v_sub_u32_e32 v16, 0, v14
	v_cndmask_b32_e32 v7, v11, v7, vcc
	v_cmp_lt_u32_e32 vcc, v9, v14
	v_cndmask_b32_e32 v11, v16, v15, vcc
	v_add_u32_e32 v9, v11, v9
	v_add_u32_e32 v11, -1, v9
	v_cvt_f32_u32_e32 v11, v11
	v_cvt_f32_u32_e32 v13, v13
	v_add_f32_e32 v10, 1.0, v7
	v_fma_f32 v11, v11, s9, 0
	v_fma_f32 v13, v13, s9, 0
	v_mul_f32_e32 v11, v11, v11
	v_fmac_f32_e32 v11, v13, v13
	v_mul_f32_e32 v12, 0x4f800000, v11
	v_cmp_gt_f32_e32 vcc, s11, v11
	v_cndmask_b32_e32 v11, v11, v12, vcc
	v_sqrt_f32_e32 v12, v11
	v_add_u32_e32 v13, -1, v12
	v_add_u32_e32 v14, 1, v12
	v_fma_f32 v15, -v13, v12, v11
	v_fma_f32 v16, -v14, v12, v11
	v_cmp_ge_f32_e64 s[0:1], 0, v15
	v_cndmask_b32_e64 v12, v12, v13, s[0:1]
	v_cmp_lt_f32_e64 s[0:1], 0, v16
	v_cndmask_b32_e64 v12, v12, v14, s[0:1]
	v_mul_f32_e32 v13, 0x37800000, v12
	v_cndmask_b32_e32 v12, v12, v13, vcc
	v_cmp_class_f32_e32 vcc, v11, v8
	v_cndmask_b32_e32 v11, v12, v11, vcc
	v_cmp_nge_f32_e32 vcc, 1.0, v11
	v_cndmask_b32_e32 v7, v10, v7, vcc
	s_cbranch_scc1 .LBB31_339
; %bb.340:
	v_add_u32_e32 v8, 0x7f356316, v3
	v_lshrrev_b32_e32 v9, 19, v8
	v_xor_b32_e32 v8, v8, v9
	v_xor_b32_e32 v8, 0xc761c23c, v8
	v_lshl_add_u32 v8, v8, 5, v8
	v_mov_b32_e32 v10, 0xaccf6200
	v_add_u32_e32 v9, 0xe9f8cc1d, v8
	v_lshl_add_u32 v8, v8, 9, v10
	v_xor_b32_e32 v8, v9, v8
	v_lshlrev_b32_e32 v9, 3, v8
	s_mov_b32 s0, 0xfd7046c5
	v_add3_u32 v8, v8, v9, s0
	v_xor_b32_sdwa v8, v8, v8 dst_sel:DWORD dst_unused:UNUSED_PAD src0_sel:DWORD src1_sel:WORD_1
	v_xor_b32_e32 v9, 0xb55a4f09, v8
	v_mul_hi_u32 v8, v9, 3
	s_brev_b32 s0, -2
	s_movk_i32 s2, 0x2710
	s_mov_b32 s3, 0xbc8f1391
	v_sub_u32_e32 v10, v9, v8
	v_lshrrev_b32_e32 v10, 1, v10
	v_add_u32_e32 v8, v10, v8
	v_lshrrev_b32_e32 v8, 30, v8
	v_mul_lo_u32 v10, v8, s0
	v_mov_b32_e32 v8, 0
	s_mov_b32 s8, 0xbc8f
	s_brev_b32 s9, 12
	v_sub_u32_e32 v9, v9, v10
	v_max_u32_e32 v10, 1, v9
	s_mov_b32 s11, 0xf800000
	v_mov_b32_e32 v9, 0x260
.LBB31_341:                             ; =>This Inner Loop Header: Depth=1
	v_mul_hi_u32 v11, v10, s3
	v_add_f32_e32 v12, 1.0, v8
	s_add_i32 s2, s2, -2
	s_cmp_lg_u32 s2, 0
	v_lshrrev_b32_e32 v11, 15, v11
	v_mul_u32_u24_e32 v13, 0xadc8, v11
	v_sub_u32_e32 v10, v10, v13
	v_mul_lo_u32 v10, v10, s8
	v_mul_u32_u24_e32 v11, 0xd47, v11
	v_xor_b32_e32 v13, 0x7fffffff, v11
	v_sub_u32_e32 v14, 0, v11
	v_cmp_lt_u32_e32 vcc, v10, v11
	v_cndmask_b32_e32 v11, v14, v13, vcc
	v_add_u32_e32 v10, v11, v10
	v_mul_hi_u32 v13, v10, s3
	v_add_u32_e32 v11, -1, v10
	v_cvt_f32_u32_e32 v11, v11
	v_lshrrev_b32_e32 v13, 15, v13
	v_mul_u32_u24_e32 v14, 0xadc8, v13
	v_sub_u32_e32 v10, v10, v14
	v_mul_lo_u32 v10, v10, s8
	v_mul_u32_u24_e32 v13, 0xd47, v13
	v_xor_b32_e32 v14, 0x7fffffff, v13
	v_sub_u32_e32 v15, 0, v13
	v_cmp_lt_u32_e32 vcc, v10, v13
	v_cndmask_b32_e32 v13, v15, v14, vcc
	v_add_u32_e32 v10, v13, v10
	v_mul_hi_u32 v14, v10, s3
	v_add_u32_e32 v13, -1, v10
	v_cvt_f32_u32_e32 v13, v13
	v_fma_f32 v11, v11, s9, 0
	v_lshrrev_b32_e32 v14, 15, v14
	v_mul_u32_u24_e32 v15, 0xadc8, v14
	v_fma_f32 v13, v13, s9, 0
	v_sub_u32_e32 v10, v10, v15
	v_mul_f32_e32 v13, v13, v13
	v_mul_lo_u32 v10, v10, s8
	v_fmac_f32_e32 v13, v11, v11
	v_mul_f32_e32 v11, 0x4f800000, v13
	v_cmp_gt_f32_e32 vcc, s11, v13
	v_mul_u32_u24_e32 v14, 0xd47, v14
	v_cndmask_b32_e32 v11, v13, v11, vcc
	v_xor_b32_e32 v15, 0x7fffffff, v14
	v_sub_u32_e32 v16, 0, v14
	v_sqrt_f32_e32 v13, v11
	v_cmp_lt_u32_e64 s[0:1], v10, v14
	v_cndmask_b32_e64 v14, v16, v15, s[0:1]
	v_add_u32_e32 v10, v14, v10
	v_mul_hi_u32 v15, v10, s3
	v_add_u32_e32 v16, -1, v13
	v_add_u32_e32 v17, 1, v13
	v_fma_f32 v18, -v16, v13, v11
	v_fma_f32 v19, -v17, v13, v11
	v_cmp_ge_f32_e64 s[0:1], 0, v18
	v_cndmask_b32_e64 v13, v13, v16, s[0:1]
	v_cmp_lt_f32_e64 s[0:1], 0, v19
	v_lshrrev_b32_e32 v15, 15, v15
	v_cndmask_b32_e64 v13, v13, v17, s[0:1]
	v_mul_u32_u24_e32 v17, 0xadc8, v15
	v_add_u32_e32 v14, -1, v10
	v_sub_u32_e32 v10, v10, v17
	v_mul_f32_e32 v16, 0x37800000, v13
	v_mul_lo_u32 v10, v10, s8
	v_cndmask_b32_e32 v13, v13, v16, vcc
	v_cmp_class_f32_e32 vcc, v11, v9
	v_cndmask_b32_e32 v11, v13, v11, vcc
	v_mul_u32_u24_e32 v15, 0xd47, v15
	v_cmp_nge_f32_e32 vcc, 1.0, v11
	v_xor_b32_e32 v16, 0x7fffffff, v15
	v_sub_u32_e32 v17, 0, v15
	v_cndmask_b32_e32 v8, v12, v8, vcc
	v_cmp_lt_u32_e32 vcc, v10, v15
	v_cndmask_b32_e32 v12, v17, v16, vcc
	v_add_u32_e32 v10, v12, v10
	v_add_u32_e32 v12, -1, v10
	v_cvt_f32_u32_e32 v12, v12
	v_cvt_f32_u32_e32 v14, v14
	v_add_f32_e32 v11, 1.0, v8
	v_fma_f32 v12, v12, s9, 0
	v_fma_f32 v14, v14, s9, 0
	v_mul_f32_e32 v12, v12, v12
	v_fmac_f32_e32 v12, v14, v14
	v_mul_f32_e32 v13, 0x4f800000, v12
	v_cmp_gt_f32_e32 vcc, s11, v12
	v_cndmask_b32_e32 v12, v12, v13, vcc
	v_sqrt_f32_e32 v13, v12
	v_add_u32_e32 v14, -1, v13
	v_add_u32_e32 v15, 1, v13
	v_fma_f32 v16, -v14, v13, v12
	v_fma_f32 v17, -v15, v13, v12
	v_cmp_ge_f32_e64 s[0:1], 0, v16
	v_cndmask_b32_e64 v13, v13, v14, s[0:1]
	v_cmp_lt_f32_e64 s[0:1], 0, v17
	v_cndmask_b32_e64 v13, v13, v15, s[0:1]
	v_mul_f32_e32 v14, 0x37800000, v13
	v_cndmask_b32_e32 v13, v13, v14, vcc
	v_cmp_class_f32_e32 vcc, v12, v9
	v_cndmask_b32_e32 v12, v13, v12, vcc
	v_cmp_nge_f32_e32 vcc, 1.0, v12
	v_cndmask_b32_e32 v8, v11, v8, vcc
	s_cbranch_scc1 .LBB31_341
; %bb.342:
	v_add_u32_e32 v3, 0x7f456416, v3
	v_lshrrev_b32_e32 v9, 19, v3
	v_xor_b32_e32 v3, v3, v9
	v_xor_b32_e32 v3, 0xc761c23c, v3
	v_lshl_add_u32 v3, v3, 5, v3
	v_mov_b32_e32 v10, 0xaccf6200
	v_add_u32_e32 v9, 0xe9f8cc1d, v3
	v_lshl_add_u32 v3, v3, 9, v10
	v_xor_b32_e32 v3, v9, v3
	v_lshlrev_b32_e32 v9, 3, v3
	s_mov_b32 s0, 0xfd7046c5
	v_add3_u32 v3, v3, v9, s0
	v_xor_b32_sdwa v3, v3, v3 dst_sel:DWORD dst_unused:UNUSED_PAD src0_sel:DWORD src1_sel:WORD_1
	v_xor_b32_e32 v9, 0xb55a4f09, v3
	v_mul_hi_u32 v3, v9, 3
	s_brev_b32 s0, -2
	s_movk_i32 s2, 0x2710
	s_mov_b32 s3, 0xbc8f1391
	v_sub_u32_e32 v10, v9, v3
	v_lshrrev_b32_e32 v10, 1, v10
	v_add_u32_e32 v3, v10, v3
	v_lshrrev_b32_e32 v3, 30, v3
	v_mul_lo_u32 v10, v3, s0
	v_mov_b32_e32 v3, 0
	s_mov_b32 s8, 0xbc8f
	s_brev_b32 s9, 12
	v_sub_u32_e32 v9, v9, v10
	v_max_u32_e32 v10, 1, v9
	s_mov_b32 s11, 0xf800000
	v_mov_b32_e32 v9, 0x260
.LBB31_343:                             ; =>This Inner Loop Header: Depth=1
	v_mul_hi_u32 v11, v10, s3
	v_add_f32_e32 v12, 1.0, v3
	s_add_i32 s2, s2, -2
	s_cmp_lg_u32 s2, 0
	v_lshrrev_b32_e32 v11, 15, v11
	v_mul_u32_u24_e32 v13, 0xadc8, v11
	v_sub_u32_e32 v10, v10, v13
	v_mul_lo_u32 v10, v10, s8
	v_mul_u32_u24_e32 v11, 0xd47, v11
	v_xor_b32_e32 v13, 0x7fffffff, v11
	v_sub_u32_e32 v14, 0, v11
	v_cmp_lt_u32_e32 vcc, v10, v11
	v_cndmask_b32_e32 v11, v14, v13, vcc
	v_add_u32_e32 v10, v11, v10
	v_mul_hi_u32 v13, v10, s3
	v_add_u32_e32 v11, -1, v10
	v_cvt_f32_u32_e32 v11, v11
	v_lshrrev_b32_e32 v13, 15, v13
	v_mul_u32_u24_e32 v14, 0xadc8, v13
	v_sub_u32_e32 v10, v10, v14
	v_mul_lo_u32 v10, v10, s8
	v_mul_u32_u24_e32 v13, 0xd47, v13
	v_xor_b32_e32 v14, 0x7fffffff, v13
	v_sub_u32_e32 v15, 0, v13
	v_cmp_lt_u32_e32 vcc, v10, v13
	v_cndmask_b32_e32 v13, v15, v14, vcc
	v_add_u32_e32 v10, v13, v10
	v_mul_hi_u32 v14, v10, s3
	v_add_u32_e32 v13, -1, v10
	v_cvt_f32_u32_e32 v13, v13
	v_fma_f32 v11, v11, s9, 0
	v_lshrrev_b32_e32 v14, 15, v14
	v_mul_u32_u24_e32 v15, 0xadc8, v14
	v_fma_f32 v13, v13, s9, 0
	v_sub_u32_e32 v10, v10, v15
	v_mul_f32_e32 v13, v13, v13
	v_mul_lo_u32 v10, v10, s8
	v_fmac_f32_e32 v13, v11, v11
	v_mul_f32_e32 v11, 0x4f800000, v13
	v_cmp_gt_f32_e32 vcc, s11, v13
	v_mul_u32_u24_e32 v14, 0xd47, v14
	v_cndmask_b32_e32 v11, v13, v11, vcc
	v_xor_b32_e32 v15, 0x7fffffff, v14
	v_sub_u32_e32 v16, 0, v14
	v_sqrt_f32_e32 v13, v11
	v_cmp_lt_u32_e64 s[0:1], v10, v14
	v_cndmask_b32_e64 v14, v16, v15, s[0:1]
	v_add_u32_e32 v10, v14, v10
	v_mul_hi_u32 v15, v10, s3
	v_add_u32_e32 v16, -1, v13
	v_add_u32_e32 v17, 1, v13
	v_fma_f32 v18, -v16, v13, v11
	v_fma_f32 v19, -v17, v13, v11
	v_cmp_ge_f32_e64 s[0:1], 0, v18
	v_cndmask_b32_e64 v13, v13, v16, s[0:1]
	v_cmp_lt_f32_e64 s[0:1], 0, v19
	v_lshrrev_b32_e32 v15, 15, v15
	v_cndmask_b32_e64 v13, v13, v17, s[0:1]
	v_mul_u32_u24_e32 v17, 0xadc8, v15
	v_add_u32_e32 v14, -1, v10
	v_sub_u32_e32 v10, v10, v17
	v_mul_f32_e32 v16, 0x37800000, v13
	v_mul_lo_u32 v10, v10, s8
	v_cndmask_b32_e32 v13, v13, v16, vcc
	v_cmp_class_f32_e32 vcc, v11, v9
	v_cndmask_b32_e32 v11, v13, v11, vcc
	v_mul_u32_u24_e32 v15, 0xd47, v15
	v_cmp_nge_f32_e32 vcc, 1.0, v11
	v_xor_b32_e32 v16, 0x7fffffff, v15
	v_sub_u32_e32 v17, 0, v15
	v_cndmask_b32_e32 v3, v12, v3, vcc
	v_cmp_lt_u32_e32 vcc, v10, v15
	v_cndmask_b32_e32 v12, v17, v16, vcc
	v_add_u32_e32 v10, v12, v10
	v_add_u32_e32 v12, -1, v10
	v_cvt_f32_u32_e32 v12, v12
	v_cvt_f32_u32_e32 v14, v14
	v_add_f32_e32 v11, 1.0, v3
	v_fma_f32 v12, v12, s9, 0
	v_fma_f32 v14, v14, s9, 0
	v_mul_f32_e32 v12, v12, v12
	v_fmac_f32_e32 v12, v14, v14
	v_mul_f32_e32 v13, 0x4f800000, v12
	v_cmp_gt_f32_e32 vcc, s11, v12
	v_cndmask_b32_e32 v12, v12, v13, vcc
	v_sqrt_f32_e32 v13, v12
	v_add_u32_e32 v14, -1, v13
	v_add_u32_e32 v15, 1, v13
	v_fma_f32 v16, -v14, v13, v12
	v_fma_f32 v17, -v15, v13, v12
	v_cmp_ge_f32_e64 s[0:1], 0, v16
	v_cndmask_b32_e64 v13, v13, v14, s[0:1]
	v_cmp_lt_f32_e64 s[0:1], 0, v17
	v_cndmask_b32_e64 v13, v13, v15, s[0:1]
	v_mul_f32_e32 v14, 0x37800000, v13
	v_cndmask_b32_e32 v13, v13, v14, vcc
	v_cmp_class_f32_e32 vcc, v12, v9
	v_cndmask_b32_e32 v12, v13, v12, vcc
	v_cmp_nge_f32_e32 vcc, 1.0, v12
	v_cndmask_b32_e32 v3, v11, v3, vcc
	s_cbranch_scc1 .LBB31_343
; %bb.344:
	v_mul_f32_e32 v1, 4.0, v1
	s_mov_b32 s11, 0x461c4000
	v_div_scale_f32 v9, s[0:1], s11, s11, v1
	v_mul_f32_e32 v2, 4.0, v2
	v_div_scale_f32 v10, s[0:1], s11, s11, v2
	v_div_scale_f32 v11, vcc, v1, s11, v1
	v_div_scale_f32 v12, s[0:1], v2, s11, v2
	v_mul_f32_e32 v4, 4.0, v4
	v_div_scale_f32 v13, s[2:3], s11, s11, v4
	v_div_scale_f32 v16, s[2:3], v4, s11, v4
	v_mul_f32_e32 v5, 4.0, v5
	v_mul_f32_e32 v6, 4.0, v6
	v_rcp_f32_e32 v14, v9
	v_mul_f32_e32 v7, 4.0, v7
	v_mul_f32_e32 v8, 4.0, v8
	v_rcp_f32_e32 v15, v10
	v_fma_f32 v17, -v9, v14, 1.0
	v_fmac_f32_e32 v14, v17, v14
	v_mul_f32_e32 v17, v11, v14
	v_fma_f32 v18, -v10, v15, 1.0
	v_fmac_f32_e32 v15, v18, v15
	v_fma_f32 v18, -v9, v17, v11
	v_fmac_f32_e32 v17, v18, v14
	v_fma_f32 v9, -v9, v17, v11
	v_div_fmas_f32 v9, v9, v14, v17
	v_div_scale_f32 v17, s[8:9], s11, s11, v5
	v_mul_f32_e32 v11, v12, v15
	v_fma_f32 v14, -v10, v11, v12
	v_fmac_f32_e32 v11, v14, v15
	v_div_scale_f32 v14, s[8:9], v5, s11, v5
	v_fma_f32 v10, -v10, v11, v12
	v_rcp_f32_e32 v12, v13
	s_mov_b64 vcc, s[0:1]
	v_div_fmas_f32 v10, v10, v15, v11
	v_div_scale_f32 v18, s[0:1], s11, s11, v6
	v_fma_f32 v11, -v13, v12, 1.0
	v_fmac_f32_e32 v12, v11, v12
	v_mul_f32_e32 v11, v16, v12
	v_fma_f32 v15, -v13, v11, v16
	v_fmac_f32_e32 v11, v15, v12
	v_rcp_f32_e32 v15, v17
	v_fma_f32 v13, -v13, v11, v16
	s_mov_b64 vcc, s[2:3]
	v_div_fmas_f32 v11, v13, v12, v11
	v_fma_f32 v12, -v17, v15, 1.0
	v_fmac_f32_e32 v15, v12, v15
	v_div_scale_f32 v16, s[0:1], v6, s11, v6
	v_mul_f32_e32 v12, v14, v15
	v_fma_f32 v13, -v17, v12, v14
	v_fmac_f32_e32 v12, v13, v15
	v_div_scale_f32 v13, s[2:3], s11, s11, v7
	v_fma_f32 v14, -v17, v12, v14
	s_mov_b64 vcc, s[8:9]
	v_div_fmas_f32 v12, v14, v15, v12
	v_div_scale_f32 v15, s[2:3], v7, s11, v7
	v_rcp_f32_e32 v19, v18
	v_div_scale_f32 v17, s[8:9], s11, s11, v8
	s_mov_b64 vcc, s[0:1]
	v_fma_f32 v14, -v18, v19, 1.0
	v_fmac_f32_e32 v19, v14, v19
	v_mul_f32_e32 v14, v16, v19
	v_fma_f32 v20, -v18, v14, v16
	v_fmac_f32_e32 v14, v20, v19
	v_fma_f32 v16, -v18, v14, v16
	v_rcp_f32_e32 v18, v13
	v_div_scale_f32 v20, s[8:9], v8, s11, v8
	v_mul_f32_e32 v3, 4.0, v3
	v_div_fmas_f32 v14, v16, v19, v14
	v_div_scale_f32 v19, s[0:1], s11, s11, v3
	v_fma_f32 v16, -v13, v18, 1.0
	v_fmac_f32_e32 v18, v16, v18
	v_mul_f32_e32 v16, v15, v18
	v_fma_f32 v21, -v13, v16, v15
	v_fmac_f32_e32 v16, v21, v18
	v_div_scale_f32 v21, s[0:1], v3, s11, v3
	v_rcp_f32_e32 v22, v17
	v_fma_f32 v13, -v13, v16, v15
	s_mov_b64 vcc, s[2:3]
	v_div_fmas_f32 v13, v13, v18, v16
	v_fma_f32 v15, -v17, v22, 1.0
	v_fmac_f32_e32 v22, v15, v22
	v_mul_f32_e32 v15, v20, v22
	v_fma_f32 v16, -v17, v15, v20
	v_fmac_f32_e32 v15, v16, v22
	v_rcp_f32_e32 v16, v19
	v_fma_f32 v17, -v17, v15, v20
	s_mov_b64 vcc, s[8:9]
	v_div_fmas_f32 v15, v17, v22, v15
	v_fma_f32 v17, -v19, v16, 1.0
	v_fmac_f32_e32 v16, v17, v16
	v_mul_f32_e32 v17, v21, v16
	v_fma_f32 v18, -v19, v17, v21
	v_fmac_f32_e32 v17, v18, v16
	v_fma_f32 v18, -v19, v17, v21
	s_mov_b64 vcc, s[0:1]
	v_div_fmas_f32 v16, v18, v16, v17
	v_div_fixup_f32 v1, v9, s11, v1
	v_div_fixup_f32 v2, v10, s11, v2
	;; [unrolled: 1-line block ×3, first 2 shown]
	v_add_f32_e32 v1, v1, v2
	v_div_fixup_f32 v5, v12, s11, v5
	v_add_f32_e32 v1, v1, v4
	v_div_fixup_f32 v6, v14, s11, v6
	;; [unrolled: 2-line block ×4, first 2 shown]
	v_add_f32_e32 v1, v1, v7
	v_add_f32_e32 v1, v1, v8
	v_mbcnt_lo_u32_b32 v2, -1, 0
	v_mbcnt_hi_u32_b32 v2, -1, v2
	v_div_fixup_f32 v3, v16, s11, v3
	v_add_f32_e32 v1, v1, v3
	v_lshlrev_b32_e32 v3, 2, v2
	v_or_b32_e32 v4, 0xfc, v3
	v_add_f32_dpp v1, v1, v1 quad_perm:[1,0,3,2] row_mask:0xf bank_mask:0xf bound_ctrl:1
	v_cmp_eq_u32_e32 vcc, 0, v2
	s_nop 0
	v_add_f32_dpp v1, v1, v1 quad_perm:[2,3,0,1] row_mask:0xf bank_mask:0xf bound_ctrl:1
	s_nop 1
	v_add_f32_dpp v1, v1, v1 row_ror:4 row_mask:0xf bank_mask:0xf bound_ctrl:1
	s_nop 1
	v_add_f32_dpp v1, v1, v1 row_ror:8 row_mask:0xf bank_mask:0xf bound_ctrl:1
	s_nop 1
	v_add_f32_dpp v1, v1, v1 row_bcast:15 row_mask:0xf bank_mask:0xf bound_ctrl:1
	s_nop 1
	v_add_f32_dpp v1, v1, v1 row_bcast:31 row_mask:0xf bank_mask:0xf bound_ctrl:1
	ds_bpermute_b32 v1, v4, v1
	s_and_saveexec_b64 s[0:1], vcc
	s_cbranch_execz .LBB31_346
; %bb.345:
	v_lshrrev_b32_e32 v4, 4, v0
	v_and_b32_e32 v4, 12, v4
	s_waitcnt lgkmcnt(0)
	ds_write_b32 v4, v1 offset:80
.LBB31_346:
	s_or_b64 exec, exec, s[0:1]
	v_cmp_gt_u32_e32 vcc, 64, v0
	s_waitcnt lgkmcnt(0)
	s_barrier
	s_and_saveexec_b64 s[0:1], vcc
	s_cbranch_execz .LBB31_348
; %bb.347:
	v_and_b32_e32 v1, 3, v2
	v_lshlrev_b32_e32 v4, 2, v1
	ds_read_b32 v4, v4 offset:80
	v_cmp_ne_u32_e32 vcc, 3, v1
	v_addc_co_u32_e32 v1, vcc, 0, v2, vcc
	v_lshlrev_b32_e32 v1, 2, v1
	s_waitcnt lgkmcnt(0)
	ds_bpermute_b32 v1, v1, v4
	v_or_b32_e32 v2, 8, v3
	s_waitcnt lgkmcnt(0)
	v_add_f32_e32 v1, v4, v1
	ds_bpermute_b32 v2, v2, v1
	s_waitcnt lgkmcnt(0)
	v_add_f32_e32 v1, v1, v2
.LBB31_348:
	s_or_b64 exec, exec, s[0:1]
	s_branch .LBB31_389
.LBB31_349:
                                        ; implicit-def: $vgpr1
.LBB31_350:
	s_branch .LBB31_474
.LBB31_351:
                                        ; implicit-def: $vgpr1
	s_cbranch_execz .LBB31_389
; %bb.352:
	s_sub_i32 s23, s72, s10
	v_mov_b32_e32 v1, 0
	v_cmp_gt_u32_e32 vcc, s23, v0
	v_mov_b32_e32 v2, v1
	v_mov_b32_e32 v3, v1
	;; [unrolled: 1-line block ×7, first 2 shown]
	s_and_saveexec_b64 s[2:3], vcc
	s_cbranch_execz .LBB31_356
; %bb.353:
	v_add_u32_e32 v2, s22, v0
	v_lshlrev_b32_e32 v3, 12, v2
	s_mov_b32 s0, 0x7ed55d16
	v_add3_u32 v2, v2, v3, s0
	v_lshrrev_b32_e32 v3, 19, v2
	v_xor_b32_e32 v2, v2, v3
	v_xor_b32_e32 v2, 0xc761c23c, v2
	v_lshl_add_u32 v2, v2, 5, v2
	v_mov_b32_e32 v4, 0xaccf6200
	v_add_u32_e32 v3, 0xe9f8cc1d, v2
	v_lshl_add_u32 v2, v2, 9, v4
	v_xor_b32_e32 v2, v3, v2
	v_lshlrev_b32_e32 v3, 3, v2
	s_mov_b32 s0, 0xfd7046c5
	v_add3_u32 v2, v2, v3, s0
	v_xor_b32_sdwa v2, v2, v2 dst_sel:DWORD dst_unused:UNUSED_PAD src0_sel:DWORD src1_sel:WORD_1
	v_xor_b32_e32 v2, 0xb55a4f09, v2
	v_mul_hi_u32 v3, v2, 3
	s_brev_b32 s0, -2
	s_movk_i32 s8, 0x2710
	s_mov_b32 s9, 0xbc8f1391
	v_sub_u32_e32 v4, v2, v3
	v_lshrrev_b32_e32 v4, 1, v4
	v_add_u32_e32 v3, v4, v3
	v_lshrrev_b32_e32 v3, 30, v3
	v_mul_lo_u32 v3, v3, s0
	s_mov_b32 s10, 0xbc8f
	s_brev_b32 s11, 12
	s_mov_b32 s12, 0xf800000
	v_sub_u32_e32 v2, v2, v3
	v_max_u32_e32 v3, 1, v2
	v_mov_b32_e32 v2, 0x260
.LBB31_354:                             ; =>This Inner Loop Header: Depth=1
	v_mul_hi_u32 v4, v3, s9
	v_add_f32_e32 v5, 1.0, v1
	s_add_i32 s8, s8, -2
	s_cmp_lg_u32 s8, 0
	v_lshrrev_b32_e32 v4, 15, v4
	v_mul_u32_u24_e32 v6, 0xadc8, v4
	v_sub_u32_e32 v3, v3, v6
	v_mul_lo_u32 v3, v3, s10
	v_mul_u32_u24_e32 v4, 0xd47, v4
	v_xor_b32_e32 v6, 0x7fffffff, v4
	v_sub_u32_e32 v7, 0, v4
	v_cmp_lt_u32_e32 vcc, v3, v4
	v_cndmask_b32_e32 v4, v7, v6, vcc
	v_add_u32_e32 v3, v4, v3
	v_mul_hi_u32 v6, v3, s9
	v_add_u32_e32 v4, -1, v3
	v_cvt_f32_u32_e32 v4, v4
	v_lshrrev_b32_e32 v6, 15, v6
	v_mul_u32_u24_e32 v7, 0xadc8, v6
	v_sub_u32_e32 v3, v3, v7
	v_mul_lo_u32 v3, v3, s10
	v_mul_u32_u24_e32 v6, 0xd47, v6
	v_xor_b32_e32 v7, 0x7fffffff, v6
	v_sub_u32_e32 v8, 0, v6
	v_cmp_lt_u32_e32 vcc, v3, v6
	v_cndmask_b32_e32 v6, v8, v7, vcc
	v_add_u32_e32 v3, v6, v3
	v_mul_hi_u32 v7, v3, s9
	v_add_u32_e32 v6, -1, v3
	v_cvt_f32_u32_e32 v6, v6
	v_fma_f32 v4, v4, s11, 0
	v_lshrrev_b32_e32 v7, 15, v7
	v_mul_u32_u24_e32 v8, 0xadc8, v7
	v_fma_f32 v6, v6, s11, 0
	v_sub_u32_e32 v3, v3, v8
	v_mul_f32_e32 v6, v6, v6
	v_mul_lo_u32 v3, v3, s10
	v_fmac_f32_e32 v6, v4, v4
	v_mul_f32_e32 v4, 0x4f800000, v6
	v_cmp_gt_f32_e32 vcc, s12, v6
	v_mul_u32_u24_e32 v7, 0xd47, v7
	v_cndmask_b32_e32 v4, v6, v4, vcc
	v_xor_b32_e32 v8, 0x7fffffff, v7
	v_sub_u32_e32 v9, 0, v7
	v_sqrt_f32_e32 v6, v4
	v_cmp_lt_u32_e64 s[0:1], v3, v7
	v_cndmask_b32_e64 v7, v9, v8, s[0:1]
	v_add_u32_e32 v3, v7, v3
	v_mul_hi_u32 v8, v3, s9
	v_add_u32_e32 v9, -1, v6
	v_add_u32_e32 v10, 1, v6
	v_fma_f32 v11, -v9, v6, v4
	v_fma_f32 v12, -v10, v6, v4
	v_cmp_ge_f32_e64 s[0:1], 0, v11
	v_cndmask_b32_e64 v6, v6, v9, s[0:1]
	v_cmp_lt_f32_e64 s[0:1], 0, v12
	v_lshrrev_b32_e32 v8, 15, v8
	v_cndmask_b32_e64 v6, v6, v10, s[0:1]
	v_mul_u32_u24_e32 v10, 0xadc8, v8
	v_add_u32_e32 v7, -1, v3
	v_sub_u32_e32 v3, v3, v10
	v_mul_f32_e32 v9, 0x37800000, v6
	v_mul_lo_u32 v3, v3, s10
	v_cndmask_b32_e32 v6, v6, v9, vcc
	v_cmp_class_f32_e32 vcc, v4, v2
	v_cndmask_b32_e32 v4, v6, v4, vcc
	v_mul_u32_u24_e32 v8, 0xd47, v8
	v_cmp_nge_f32_e32 vcc, 1.0, v4
	v_xor_b32_e32 v9, 0x7fffffff, v8
	v_sub_u32_e32 v10, 0, v8
	v_cndmask_b32_e32 v1, v5, v1, vcc
	v_cmp_lt_u32_e32 vcc, v3, v8
	v_cndmask_b32_e32 v5, v10, v9, vcc
	v_add_u32_e32 v3, v5, v3
	v_add_u32_e32 v5, -1, v3
	v_cvt_f32_u32_e32 v5, v5
	v_cvt_f32_u32_e32 v7, v7
	v_add_f32_e32 v4, 1.0, v1
	v_fma_f32 v5, v5, s11, 0
	v_fma_f32 v7, v7, s11, 0
	v_mul_f32_e32 v5, v5, v5
	v_fmac_f32_e32 v5, v7, v7
	v_mul_f32_e32 v6, 0x4f800000, v5
	v_cmp_gt_f32_e32 vcc, s12, v5
	v_cndmask_b32_e32 v5, v5, v6, vcc
	v_sqrt_f32_e32 v6, v5
	v_add_u32_e32 v7, -1, v6
	v_add_u32_e32 v8, 1, v6
	v_fma_f32 v9, -v7, v6, v5
	v_fma_f32 v10, -v8, v6, v5
	v_cmp_ge_f32_e64 s[0:1], 0, v9
	v_cndmask_b32_e64 v6, v6, v7, s[0:1]
	v_cmp_lt_f32_e64 s[0:1], 0, v10
	v_cndmask_b32_e64 v6, v6, v8, s[0:1]
	v_mul_f32_e32 v7, 0x37800000, v6
	v_cndmask_b32_e32 v6, v6, v7, vcc
	v_cmp_class_f32_e32 vcc, v5, v2
	v_cndmask_b32_e32 v5, v6, v5, vcc
	v_cmp_nge_f32_e32 vcc, 1.0, v5
	v_cndmask_b32_e32 v1, v4, v1, vcc
	s_cbranch_scc1 .LBB31_354
; %bb.355:
	v_mul_f32_e32 v1, 4.0, v1
	s_mov_b32 s8, 0x461c4000
	v_div_scale_f32 v2, s[0:1], s8, s8, v1
	v_div_scale_f32 v3, vcc, v1, s8, v1
	v_rcp_f32_e32 v4, v2
	v_fma_f32 v5, -v2, v4, 1.0
	v_fmac_f32_e32 v4, v5, v4
	v_mul_f32_e32 v5, v3, v4
	v_fma_f32 v6, -v2, v5, v3
	v_fmac_f32_e32 v5, v6, v4
	v_fma_f32 v2, -v2, v5, v3
	v_div_fmas_f32 v8, v2, v4, v5
	v_mov_b32_e32 v2, 0
	v_mov_b32_e32 v3, v2
	;; [unrolled: 1-line block ×6, first 2 shown]
	v_div_fixup_f32 v1, v8, s8, v1
	v_mov_b32_e32 v8, v2
.LBB31_356:
	s_or_b64 exec, exec, s[2:3]
	v_or_b32_e32 v9, 0x100, v0
	v_cmp_gt_u32_e64 s[0:1], s23, v9
	s_and_saveexec_b64 s[8:9], s[0:1]
	s_cbranch_execz .LBB31_360
; %bb.357:
	v_add_u32_e32 v2, s22, v9
	v_lshlrev_b32_e32 v9, 12, v2
	s_mov_b32 s2, 0x7ed55d16
	v_add3_u32 v2, v2, v9, s2
	v_lshrrev_b32_e32 v9, 19, v2
	v_xor_b32_e32 v2, v2, v9
	v_xor_b32_e32 v2, 0xc761c23c, v2
	v_lshl_add_u32 v2, v2, 5, v2
	v_mov_b32_e32 v10, 0xaccf6200
	v_add_u32_e32 v9, 0xe9f8cc1d, v2
	v_lshl_add_u32 v2, v2, 9, v10
	v_xor_b32_e32 v2, v9, v2
	v_lshlrev_b32_e32 v9, 3, v2
	s_mov_b32 s2, 0xfd7046c5
	v_add3_u32 v2, v2, v9, s2
	v_xor_b32_sdwa v2, v2, v2 dst_sel:DWORD dst_unused:UNUSED_PAD src0_sel:DWORD src1_sel:WORD_1
	v_xor_b32_e32 v2, 0xb55a4f09, v2
	v_mul_hi_u32 v9, v2, 3
	s_brev_b32 s2, -2
	s_movk_i32 s10, 0x2710
	s_mov_b32 s11, 0xbc8f1391
	v_sub_u32_e32 v10, v2, v9
	v_lshrrev_b32_e32 v10, 1, v10
	v_add_u32_e32 v9, v10, v9
	v_lshrrev_b32_e32 v9, 30, v9
	v_mul_lo_u32 v10, v9, s2
	v_mov_b32_e32 v9, 0
	s_mov_b32 s12, 0xbc8f
	s_brev_b32 s13, 12
	v_sub_u32_e32 v2, v2, v10
	v_max_u32_e32 v10, 1, v2
	s_mov_b32 s14, 0xf800000
	v_mov_b32_e32 v2, 0x260
.LBB31_358:                             ; =>This Inner Loop Header: Depth=1
	v_mul_hi_u32 v11, v10, s11
	v_add_f32_e32 v12, 1.0, v9
	s_add_i32 s10, s10, -2
	s_cmp_lg_u32 s10, 0
	v_lshrrev_b32_e32 v11, 15, v11
	v_mul_u32_u24_e32 v13, 0xadc8, v11
	v_sub_u32_e32 v10, v10, v13
	v_mul_lo_u32 v10, v10, s12
	v_mul_u32_u24_e32 v11, 0xd47, v11
	v_xor_b32_e32 v13, 0x7fffffff, v11
	v_sub_u32_e32 v14, 0, v11
	v_cmp_lt_u32_e32 vcc, v10, v11
	v_cndmask_b32_e32 v11, v14, v13, vcc
	v_add_u32_e32 v10, v11, v10
	v_mul_hi_u32 v13, v10, s11
	v_add_u32_e32 v11, -1, v10
	v_cvt_f32_u32_e32 v11, v11
	v_lshrrev_b32_e32 v13, 15, v13
	v_mul_u32_u24_e32 v14, 0xadc8, v13
	v_sub_u32_e32 v10, v10, v14
	v_mul_lo_u32 v10, v10, s12
	v_mul_u32_u24_e32 v13, 0xd47, v13
	v_xor_b32_e32 v14, 0x7fffffff, v13
	v_sub_u32_e32 v15, 0, v13
	v_cmp_lt_u32_e32 vcc, v10, v13
	v_cndmask_b32_e32 v13, v15, v14, vcc
	v_add_u32_e32 v10, v13, v10
	v_mul_hi_u32 v14, v10, s11
	v_add_u32_e32 v13, -1, v10
	v_cvt_f32_u32_e32 v13, v13
	v_fma_f32 v11, v11, s13, 0
	v_lshrrev_b32_e32 v14, 15, v14
	v_mul_u32_u24_e32 v15, 0xadc8, v14
	v_fma_f32 v13, v13, s13, 0
	v_sub_u32_e32 v10, v10, v15
	v_mul_f32_e32 v13, v13, v13
	v_mul_lo_u32 v10, v10, s12
	v_fmac_f32_e32 v13, v11, v11
	v_mul_f32_e32 v11, 0x4f800000, v13
	v_cmp_gt_f32_e32 vcc, s14, v13
	v_mul_u32_u24_e32 v14, 0xd47, v14
	v_cndmask_b32_e32 v11, v13, v11, vcc
	v_xor_b32_e32 v15, 0x7fffffff, v14
	v_sub_u32_e32 v16, 0, v14
	v_sqrt_f32_e32 v13, v11
	v_cmp_lt_u32_e64 s[2:3], v10, v14
	v_cndmask_b32_e64 v14, v16, v15, s[2:3]
	v_add_u32_e32 v10, v14, v10
	v_mul_hi_u32 v15, v10, s11
	v_add_u32_e32 v16, -1, v13
	v_add_u32_e32 v17, 1, v13
	v_fma_f32 v18, -v16, v13, v11
	v_fma_f32 v19, -v17, v13, v11
	v_cmp_ge_f32_e64 s[2:3], 0, v18
	v_cndmask_b32_e64 v13, v13, v16, s[2:3]
	v_cmp_lt_f32_e64 s[2:3], 0, v19
	v_lshrrev_b32_e32 v15, 15, v15
	v_cndmask_b32_e64 v13, v13, v17, s[2:3]
	v_mul_u32_u24_e32 v17, 0xadc8, v15
	v_add_u32_e32 v14, -1, v10
	v_sub_u32_e32 v10, v10, v17
	v_mul_f32_e32 v16, 0x37800000, v13
	v_mul_lo_u32 v10, v10, s12
	v_cndmask_b32_e32 v13, v13, v16, vcc
	v_cmp_class_f32_e32 vcc, v11, v2
	v_cndmask_b32_e32 v11, v13, v11, vcc
	v_mul_u32_u24_e32 v15, 0xd47, v15
	v_cmp_nge_f32_e32 vcc, 1.0, v11
	v_xor_b32_e32 v16, 0x7fffffff, v15
	v_sub_u32_e32 v17, 0, v15
	v_cndmask_b32_e32 v9, v12, v9, vcc
	v_cmp_lt_u32_e32 vcc, v10, v15
	v_cndmask_b32_e32 v12, v17, v16, vcc
	v_add_u32_e32 v10, v12, v10
	v_add_u32_e32 v12, -1, v10
	v_cvt_f32_u32_e32 v12, v12
	v_cvt_f32_u32_e32 v14, v14
	v_add_f32_e32 v11, 1.0, v9
	v_fma_f32 v12, v12, s13, 0
	v_fma_f32 v14, v14, s13, 0
	v_mul_f32_e32 v12, v12, v12
	v_fmac_f32_e32 v12, v14, v14
	v_mul_f32_e32 v13, 0x4f800000, v12
	v_cmp_gt_f32_e32 vcc, s14, v12
	v_cndmask_b32_e32 v12, v12, v13, vcc
	v_sqrt_f32_e32 v13, v12
	v_add_u32_e32 v14, -1, v13
	v_add_u32_e32 v15, 1, v13
	v_fma_f32 v16, -v14, v13, v12
	v_fma_f32 v17, -v15, v13, v12
	v_cmp_ge_f32_e64 s[2:3], 0, v16
	v_cndmask_b32_e64 v13, v13, v14, s[2:3]
	v_cmp_lt_f32_e64 s[2:3], 0, v17
	v_cndmask_b32_e64 v13, v13, v15, s[2:3]
	v_mul_f32_e32 v14, 0x37800000, v13
	v_cndmask_b32_e32 v13, v13, v14, vcc
	v_cmp_class_f32_e32 vcc, v12, v2
	v_cndmask_b32_e32 v12, v13, v12, vcc
	v_cmp_nge_f32_e32 vcc, 1.0, v12
	v_cndmask_b32_e32 v9, v11, v9, vcc
	s_cbranch_scc1 .LBB31_358
; %bb.359:
	v_mul_f32_e32 v2, 4.0, v9
	s_mov_b32 s10, 0x461c4000
	v_div_scale_f32 v9, s[2:3], s10, s10, v2
	v_div_scale_f32 v10, vcc, v2, s10, v2
	v_rcp_f32_e32 v11, v9
	v_fma_f32 v12, -v9, v11, 1.0
	v_fmac_f32_e32 v11, v12, v11
	v_mul_f32_e32 v12, v10, v11
	v_fma_f32 v13, -v9, v12, v10
	v_fmac_f32_e32 v12, v13, v11
	v_fma_f32 v9, -v9, v12, v10
	v_div_fmas_f32 v9, v9, v11, v12
	v_div_fixup_f32 v2, v9, s10, v2
.LBB31_360:
	s_or_b64 exec, exec, s[8:9]
	v_or_b32_e32 v9, 0x200, v0
	v_cmp_gt_u32_e64 s[2:3], s23, v9
	s_and_saveexec_b64 s[10:11], s[2:3]
	s_cbranch_execz .LBB31_364
; %bb.361:
	v_add_u32_e32 v3, s22, v9
	v_lshlrev_b32_e32 v9, 12, v3
	s_mov_b32 s8, 0x7ed55d16
	v_add3_u32 v3, v3, v9, s8
	v_lshrrev_b32_e32 v9, 19, v3
	v_xor_b32_e32 v3, v3, v9
	v_xor_b32_e32 v3, 0xc761c23c, v3
	v_lshl_add_u32 v3, v3, 5, v3
	v_mov_b32_e32 v10, 0xaccf6200
	v_add_u32_e32 v9, 0xe9f8cc1d, v3
	v_lshl_add_u32 v3, v3, 9, v10
	v_xor_b32_e32 v3, v9, v3
	v_lshlrev_b32_e32 v9, 3, v3
	s_mov_b32 s8, 0xfd7046c5
	v_add3_u32 v3, v3, v9, s8
	v_xor_b32_sdwa v3, v3, v3 dst_sel:DWORD dst_unused:UNUSED_PAD src0_sel:DWORD src1_sel:WORD_1
	v_xor_b32_e32 v3, 0xb55a4f09, v3
	v_mul_hi_u32 v9, v3, 3
	s_brev_b32 s8, -2
	s_movk_i32 s12, 0x2710
	s_mov_b32 s13, 0xbc8f1391
	v_sub_u32_e32 v10, v3, v9
	v_lshrrev_b32_e32 v10, 1, v10
	v_add_u32_e32 v9, v10, v9
	v_lshrrev_b32_e32 v9, 30, v9
	v_mul_lo_u32 v10, v9, s8
	v_mov_b32_e32 v9, 0
	s_mov_b32 s14, 0xbc8f
	s_brev_b32 s15, 12
	v_sub_u32_e32 v3, v3, v10
	v_max_u32_e32 v10, 1, v3
	s_mov_b32 s16, 0xf800000
	v_mov_b32_e32 v3, 0x260
.LBB31_362:                             ; =>This Inner Loop Header: Depth=1
	v_mul_hi_u32 v11, v10, s13
	v_add_f32_e32 v12, 1.0, v9
	s_add_i32 s12, s12, -2
	s_cmp_lg_u32 s12, 0
	v_lshrrev_b32_e32 v11, 15, v11
	v_mul_u32_u24_e32 v13, 0xadc8, v11
	v_sub_u32_e32 v10, v10, v13
	v_mul_lo_u32 v10, v10, s14
	v_mul_u32_u24_e32 v11, 0xd47, v11
	v_xor_b32_e32 v13, 0x7fffffff, v11
	v_sub_u32_e32 v14, 0, v11
	v_cmp_lt_u32_e32 vcc, v10, v11
	v_cndmask_b32_e32 v11, v14, v13, vcc
	v_add_u32_e32 v10, v11, v10
	v_mul_hi_u32 v13, v10, s13
	v_add_u32_e32 v11, -1, v10
	v_cvt_f32_u32_e32 v11, v11
	v_lshrrev_b32_e32 v13, 15, v13
	v_mul_u32_u24_e32 v14, 0xadc8, v13
	v_sub_u32_e32 v10, v10, v14
	v_mul_lo_u32 v10, v10, s14
	v_mul_u32_u24_e32 v13, 0xd47, v13
	v_xor_b32_e32 v14, 0x7fffffff, v13
	v_sub_u32_e32 v15, 0, v13
	v_cmp_lt_u32_e32 vcc, v10, v13
	v_cndmask_b32_e32 v13, v15, v14, vcc
	v_add_u32_e32 v10, v13, v10
	v_mul_hi_u32 v14, v10, s13
	v_add_u32_e32 v13, -1, v10
	v_cvt_f32_u32_e32 v13, v13
	v_fma_f32 v11, v11, s15, 0
	v_lshrrev_b32_e32 v14, 15, v14
	v_mul_u32_u24_e32 v15, 0xadc8, v14
	v_fma_f32 v13, v13, s15, 0
	v_sub_u32_e32 v10, v10, v15
	v_mul_f32_e32 v13, v13, v13
	v_mul_lo_u32 v10, v10, s14
	v_fmac_f32_e32 v13, v11, v11
	v_mul_f32_e32 v11, 0x4f800000, v13
	v_cmp_gt_f32_e32 vcc, s16, v13
	v_mul_u32_u24_e32 v14, 0xd47, v14
	v_cndmask_b32_e32 v11, v13, v11, vcc
	v_xor_b32_e32 v15, 0x7fffffff, v14
	v_sub_u32_e32 v16, 0, v14
	v_sqrt_f32_e32 v13, v11
	v_cmp_lt_u32_e64 s[8:9], v10, v14
	v_cndmask_b32_e64 v14, v16, v15, s[8:9]
	v_add_u32_e32 v10, v14, v10
	v_mul_hi_u32 v15, v10, s13
	v_add_u32_e32 v16, -1, v13
	v_add_u32_e32 v17, 1, v13
	v_fma_f32 v18, -v16, v13, v11
	v_fma_f32 v19, -v17, v13, v11
	v_cmp_ge_f32_e64 s[8:9], 0, v18
	v_cndmask_b32_e64 v13, v13, v16, s[8:9]
	v_cmp_lt_f32_e64 s[8:9], 0, v19
	v_lshrrev_b32_e32 v15, 15, v15
	v_cndmask_b32_e64 v13, v13, v17, s[8:9]
	v_mul_u32_u24_e32 v17, 0xadc8, v15
	v_add_u32_e32 v14, -1, v10
	v_sub_u32_e32 v10, v10, v17
	v_mul_f32_e32 v16, 0x37800000, v13
	v_mul_lo_u32 v10, v10, s14
	v_cndmask_b32_e32 v13, v13, v16, vcc
	v_cmp_class_f32_e32 vcc, v11, v3
	v_cndmask_b32_e32 v11, v13, v11, vcc
	v_mul_u32_u24_e32 v15, 0xd47, v15
	v_cmp_nge_f32_e32 vcc, 1.0, v11
	v_xor_b32_e32 v16, 0x7fffffff, v15
	v_sub_u32_e32 v17, 0, v15
	v_cndmask_b32_e32 v9, v12, v9, vcc
	v_cmp_lt_u32_e32 vcc, v10, v15
	v_cndmask_b32_e32 v12, v17, v16, vcc
	v_add_u32_e32 v10, v12, v10
	v_add_u32_e32 v12, -1, v10
	v_cvt_f32_u32_e32 v12, v12
	v_cvt_f32_u32_e32 v14, v14
	v_add_f32_e32 v11, 1.0, v9
	v_fma_f32 v12, v12, s15, 0
	v_fma_f32 v14, v14, s15, 0
	v_mul_f32_e32 v12, v12, v12
	v_fmac_f32_e32 v12, v14, v14
	v_mul_f32_e32 v13, 0x4f800000, v12
	v_cmp_gt_f32_e32 vcc, s16, v12
	v_cndmask_b32_e32 v12, v12, v13, vcc
	v_sqrt_f32_e32 v13, v12
	v_add_u32_e32 v14, -1, v13
	v_add_u32_e32 v15, 1, v13
	v_fma_f32 v16, -v14, v13, v12
	v_fma_f32 v17, -v15, v13, v12
	v_cmp_ge_f32_e64 s[8:9], 0, v16
	v_cndmask_b32_e64 v13, v13, v14, s[8:9]
	v_cmp_lt_f32_e64 s[8:9], 0, v17
	v_cndmask_b32_e64 v13, v13, v15, s[8:9]
	v_mul_f32_e32 v14, 0x37800000, v13
	v_cndmask_b32_e32 v13, v13, v14, vcc
	v_cmp_class_f32_e32 vcc, v12, v3
	v_cndmask_b32_e32 v12, v13, v12, vcc
	v_cmp_nge_f32_e32 vcc, 1.0, v12
	v_cndmask_b32_e32 v9, v11, v9, vcc
	s_cbranch_scc1 .LBB31_362
; %bb.363:
	v_mul_f32_e32 v3, 4.0, v9
	s_mov_b32 s12, 0x461c4000
	v_div_scale_f32 v9, s[8:9], s12, s12, v3
	v_div_scale_f32 v10, vcc, v3, s12, v3
	v_rcp_f32_e32 v11, v9
	v_fma_f32 v12, -v9, v11, 1.0
	v_fmac_f32_e32 v11, v12, v11
	v_mul_f32_e32 v12, v10, v11
	v_fma_f32 v13, -v9, v12, v10
	v_fmac_f32_e32 v12, v13, v11
	v_fma_f32 v9, -v9, v12, v10
	v_div_fmas_f32 v9, v9, v11, v12
	v_div_fixup_f32 v3, v9, s12, v3
.LBB31_364:
	s_or_b64 exec, exec, s[10:11]
	v_or_b32_e32 v9, 0x300, v0
	v_cmp_gt_u32_e64 s[8:9], s23, v9
	s_and_saveexec_b64 s[12:13], s[8:9]
	s_cbranch_execz .LBB31_368
; %bb.365:
	v_add_u32_e32 v4, s22, v9
	v_lshlrev_b32_e32 v9, 12, v4
	s_mov_b32 s10, 0x7ed55d16
	v_add3_u32 v4, v4, v9, s10
	v_lshrrev_b32_e32 v9, 19, v4
	v_xor_b32_e32 v4, v4, v9
	v_xor_b32_e32 v4, 0xc761c23c, v4
	v_lshl_add_u32 v4, v4, 5, v4
	v_mov_b32_e32 v10, 0xaccf6200
	v_add_u32_e32 v9, 0xe9f8cc1d, v4
	v_lshl_add_u32 v4, v4, 9, v10
	v_xor_b32_e32 v4, v9, v4
	v_lshlrev_b32_e32 v9, 3, v4
	s_mov_b32 s10, 0xfd7046c5
	v_add3_u32 v4, v4, v9, s10
	v_xor_b32_sdwa v4, v4, v4 dst_sel:DWORD dst_unused:UNUSED_PAD src0_sel:DWORD src1_sel:WORD_1
	v_xor_b32_e32 v4, 0xb55a4f09, v4
	v_mul_hi_u32 v9, v4, 3
	s_brev_b32 s10, -2
	s_movk_i32 s14, 0x2710
	s_mov_b32 s15, 0xbc8f1391
	v_sub_u32_e32 v10, v4, v9
	v_lshrrev_b32_e32 v10, 1, v10
	v_add_u32_e32 v9, v10, v9
	v_lshrrev_b32_e32 v9, 30, v9
	v_mul_lo_u32 v10, v9, s10
	v_mov_b32_e32 v9, 0
	s_mov_b32 s16, 0xbc8f
	s_brev_b32 s17, 12
	v_sub_u32_e32 v4, v4, v10
	v_max_u32_e32 v10, 1, v4
	s_mov_b32 s18, 0xf800000
	v_mov_b32_e32 v4, 0x260
.LBB31_366:                             ; =>This Inner Loop Header: Depth=1
	v_mul_hi_u32 v11, v10, s15
	v_add_f32_e32 v12, 1.0, v9
	s_add_i32 s14, s14, -2
	s_cmp_lg_u32 s14, 0
	v_lshrrev_b32_e32 v11, 15, v11
	v_mul_u32_u24_e32 v13, 0xadc8, v11
	v_sub_u32_e32 v10, v10, v13
	v_mul_lo_u32 v10, v10, s16
	v_mul_u32_u24_e32 v11, 0xd47, v11
	v_xor_b32_e32 v13, 0x7fffffff, v11
	v_sub_u32_e32 v14, 0, v11
	v_cmp_lt_u32_e32 vcc, v10, v11
	v_cndmask_b32_e32 v11, v14, v13, vcc
	v_add_u32_e32 v10, v11, v10
	v_mul_hi_u32 v13, v10, s15
	v_add_u32_e32 v11, -1, v10
	v_cvt_f32_u32_e32 v11, v11
	v_lshrrev_b32_e32 v13, 15, v13
	v_mul_u32_u24_e32 v14, 0xadc8, v13
	v_sub_u32_e32 v10, v10, v14
	v_mul_lo_u32 v10, v10, s16
	v_mul_u32_u24_e32 v13, 0xd47, v13
	v_xor_b32_e32 v14, 0x7fffffff, v13
	v_sub_u32_e32 v15, 0, v13
	v_cmp_lt_u32_e32 vcc, v10, v13
	v_cndmask_b32_e32 v13, v15, v14, vcc
	v_add_u32_e32 v10, v13, v10
	v_mul_hi_u32 v14, v10, s15
	v_add_u32_e32 v13, -1, v10
	v_cvt_f32_u32_e32 v13, v13
	v_fma_f32 v11, v11, s17, 0
	v_lshrrev_b32_e32 v14, 15, v14
	v_mul_u32_u24_e32 v15, 0xadc8, v14
	v_fma_f32 v13, v13, s17, 0
	v_sub_u32_e32 v10, v10, v15
	v_mul_f32_e32 v13, v13, v13
	v_mul_lo_u32 v10, v10, s16
	v_fmac_f32_e32 v13, v11, v11
	v_mul_f32_e32 v11, 0x4f800000, v13
	v_cmp_gt_f32_e32 vcc, s18, v13
	v_mul_u32_u24_e32 v14, 0xd47, v14
	v_cndmask_b32_e32 v11, v13, v11, vcc
	v_xor_b32_e32 v15, 0x7fffffff, v14
	v_sub_u32_e32 v16, 0, v14
	v_sqrt_f32_e32 v13, v11
	v_cmp_lt_u32_e64 s[10:11], v10, v14
	v_cndmask_b32_e64 v14, v16, v15, s[10:11]
	v_add_u32_e32 v10, v14, v10
	v_mul_hi_u32 v15, v10, s15
	v_add_u32_e32 v16, -1, v13
	v_add_u32_e32 v17, 1, v13
	v_fma_f32 v18, -v16, v13, v11
	v_fma_f32 v19, -v17, v13, v11
	v_cmp_ge_f32_e64 s[10:11], 0, v18
	v_cndmask_b32_e64 v13, v13, v16, s[10:11]
	v_cmp_lt_f32_e64 s[10:11], 0, v19
	v_lshrrev_b32_e32 v15, 15, v15
	v_cndmask_b32_e64 v13, v13, v17, s[10:11]
	v_mul_u32_u24_e32 v17, 0xadc8, v15
	v_add_u32_e32 v14, -1, v10
	v_sub_u32_e32 v10, v10, v17
	v_mul_f32_e32 v16, 0x37800000, v13
	v_mul_lo_u32 v10, v10, s16
	v_cndmask_b32_e32 v13, v13, v16, vcc
	v_cmp_class_f32_e32 vcc, v11, v4
	v_cndmask_b32_e32 v11, v13, v11, vcc
	v_mul_u32_u24_e32 v15, 0xd47, v15
	v_cmp_nge_f32_e32 vcc, 1.0, v11
	v_xor_b32_e32 v16, 0x7fffffff, v15
	v_sub_u32_e32 v17, 0, v15
	v_cndmask_b32_e32 v9, v12, v9, vcc
	v_cmp_lt_u32_e32 vcc, v10, v15
	v_cndmask_b32_e32 v12, v17, v16, vcc
	v_add_u32_e32 v10, v12, v10
	v_add_u32_e32 v12, -1, v10
	v_cvt_f32_u32_e32 v12, v12
	v_cvt_f32_u32_e32 v14, v14
	v_add_f32_e32 v11, 1.0, v9
	v_fma_f32 v12, v12, s17, 0
	v_fma_f32 v14, v14, s17, 0
	v_mul_f32_e32 v12, v12, v12
	v_fmac_f32_e32 v12, v14, v14
	v_mul_f32_e32 v13, 0x4f800000, v12
	v_cmp_gt_f32_e32 vcc, s18, v12
	v_cndmask_b32_e32 v12, v12, v13, vcc
	v_sqrt_f32_e32 v13, v12
	v_add_u32_e32 v14, -1, v13
	v_add_u32_e32 v15, 1, v13
	v_fma_f32 v16, -v14, v13, v12
	v_fma_f32 v17, -v15, v13, v12
	v_cmp_ge_f32_e64 s[10:11], 0, v16
	v_cndmask_b32_e64 v13, v13, v14, s[10:11]
	v_cmp_lt_f32_e64 s[10:11], 0, v17
	v_cndmask_b32_e64 v13, v13, v15, s[10:11]
	v_mul_f32_e32 v14, 0x37800000, v13
	v_cndmask_b32_e32 v13, v13, v14, vcc
	v_cmp_class_f32_e32 vcc, v12, v4
	v_cndmask_b32_e32 v12, v13, v12, vcc
	v_cmp_nge_f32_e32 vcc, 1.0, v12
	v_cndmask_b32_e32 v9, v11, v9, vcc
	s_cbranch_scc1 .LBB31_366
; %bb.367:
	v_mul_f32_e32 v4, 4.0, v9
	s_mov_b32 s14, 0x461c4000
	v_div_scale_f32 v9, s[10:11], s14, s14, v4
	v_div_scale_f32 v10, vcc, v4, s14, v4
	v_rcp_f32_e32 v11, v9
	v_fma_f32 v12, -v9, v11, 1.0
	v_fmac_f32_e32 v11, v12, v11
	v_mul_f32_e32 v12, v10, v11
	v_fma_f32 v13, -v9, v12, v10
	v_fmac_f32_e32 v12, v13, v11
	v_fma_f32 v9, -v9, v12, v10
	v_div_fmas_f32 v9, v9, v11, v12
	v_div_fixup_f32 v4, v9, s14, v4
.LBB31_368:
	s_or_b64 exec, exec, s[12:13]
	v_or_b32_e32 v9, 0x400, v0
	v_cmp_gt_u32_e64 s[10:11], s23, v9
	s_and_saveexec_b64 s[14:15], s[10:11]
	s_cbranch_execz .LBB31_372
; %bb.369:
	v_add_u32_e32 v5, s22, v9
	v_lshlrev_b32_e32 v9, 12, v5
	s_mov_b32 s12, 0x7ed55d16
	v_add3_u32 v5, v5, v9, s12
	v_lshrrev_b32_e32 v9, 19, v5
	v_xor_b32_e32 v5, v5, v9
	v_xor_b32_e32 v5, 0xc761c23c, v5
	v_lshl_add_u32 v5, v5, 5, v5
	v_mov_b32_e32 v10, 0xaccf6200
	v_add_u32_e32 v9, 0xe9f8cc1d, v5
	v_lshl_add_u32 v5, v5, 9, v10
	v_xor_b32_e32 v5, v9, v5
	v_lshlrev_b32_e32 v9, 3, v5
	s_mov_b32 s12, 0xfd7046c5
	v_add3_u32 v5, v5, v9, s12
	v_xor_b32_sdwa v5, v5, v5 dst_sel:DWORD dst_unused:UNUSED_PAD src0_sel:DWORD src1_sel:WORD_1
	v_xor_b32_e32 v5, 0xb55a4f09, v5
	v_mul_hi_u32 v9, v5, 3
	s_brev_b32 s12, -2
	s_movk_i32 s16, 0x2710
	s_mov_b32 s17, 0xbc8f1391
	v_sub_u32_e32 v10, v5, v9
	v_lshrrev_b32_e32 v10, 1, v10
	v_add_u32_e32 v9, v10, v9
	v_lshrrev_b32_e32 v9, 30, v9
	v_mul_lo_u32 v10, v9, s12
	v_mov_b32_e32 v9, 0
	s_mov_b32 s18, 0xbc8f
	s_brev_b32 s19, 12
	v_sub_u32_e32 v5, v5, v10
	v_max_u32_e32 v10, 1, v5
	s_mov_b32 s20, 0xf800000
	v_mov_b32_e32 v5, 0x260
.LBB31_370:                             ; =>This Inner Loop Header: Depth=1
	v_mul_hi_u32 v11, v10, s17
	v_add_f32_e32 v12, 1.0, v9
	s_add_i32 s16, s16, -2
	s_cmp_lg_u32 s16, 0
	v_lshrrev_b32_e32 v11, 15, v11
	v_mul_u32_u24_e32 v13, 0xadc8, v11
	v_sub_u32_e32 v10, v10, v13
	v_mul_lo_u32 v10, v10, s18
	v_mul_u32_u24_e32 v11, 0xd47, v11
	v_xor_b32_e32 v13, 0x7fffffff, v11
	v_sub_u32_e32 v14, 0, v11
	v_cmp_lt_u32_e32 vcc, v10, v11
	v_cndmask_b32_e32 v11, v14, v13, vcc
	v_add_u32_e32 v10, v11, v10
	v_mul_hi_u32 v13, v10, s17
	v_add_u32_e32 v11, -1, v10
	v_cvt_f32_u32_e32 v11, v11
	v_lshrrev_b32_e32 v13, 15, v13
	v_mul_u32_u24_e32 v14, 0xadc8, v13
	v_sub_u32_e32 v10, v10, v14
	v_mul_lo_u32 v10, v10, s18
	v_mul_u32_u24_e32 v13, 0xd47, v13
	v_xor_b32_e32 v14, 0x7fffffff, v13
	v_sub_u32_e32 v15, 0, v13
	v_cmp_lt_u32_e32 vcc, v10, v13
	v_cndmask_b32_e32 v13, v15, v14, vcc
	v_add_u32_e32 v10, v13, v10
	v_mul_hi_u32 v14, v10, s17
	v_add_u32_e32 v13, -1, v10
	v_cvt_f32_u32_e32 v13, v13
	v_fma_f32 v11, v11, s19, 0
	v_lshrrev_b32_e32 v14, 15, v14
	v_mul_u32_u24_e32 v15, 0xadc8, v14
	v_fma_f32 v13, v13, s19, 0
	v_sub_u32_e32 v10, v10, v15
	v_mul_f32_e32 v13, v13, v13
	v_mul_lo_u32 v10, v10, s18
	v_fmac_f32_e32 v13, v11, v11
	v_mul_f32_e32 v11, 0x4f800000, v13
	v_cmp_gt_f32_e32 vcc, s20, v13
	v_mul_u32_u24_e32 v14, 0xd47, v14
	v_cndmask_b32_e32 v11, v13, v11, vcc
	v_xor_b32_e32 v15, 0x7fffffff, v14
	v_sub_u32_e32 v16, 0, v14
	v_sqrt_f32_e32 v13, v11
	v_cmp_lt_u32_e64 s[12:13], v10, v14
	v_cndmask_b32_e64 v14, v16, v15, s[12:13]
	v_add_u32_e32 v10, v14, v10
	v_mul_hi_u32 v15, v10, s17
	v_add_u32_e32 v16, -1, v13
	v_add_u32_e32 v17, 1, v13
	v_fma_f32 v18, -v16, v13, v11
	v_fma_f32 v19, -v17, v13, v11
	v_cmp_ge_f32_e64 s[12:13], 0, v18
	v_cndmask_b32_e64 v13, v13, v16, s[12:13]
	v_cmp_lt_f32_e64 s[12:13], 0, v19
	v_lshrrev_b32_e32 v15, 15, v15
	v_cndmask_b32_e64 v13, v13, v17, s[12:13]
	v_mul_u32_u24_e32 v17, 0xadc8, v15
	v_add_u32_e32 v14, -1, v10
	v_sub_u32_e32 v10, v10, v17
	v_mul_f32_e32 v16, 0x37800000, v13
	v_mul_lo_u32 v10, v10, s18
	v_cndmask_b32_e32 v13, v13, v16, vcc
	v_cmp_class_f32_e32 vcc, v11, v5
	v_cndmask_b32_e32 v11, v13, v11, vcc
	v_mul_u32_u24_e32 v15, 0xd47, v15
	v_cmp_nge_f32_e32 vcc, 1.0, v11
	v_xor_b32_e32 v16, 0x7fffffff, v15
	v_sub_u32_e32 v17, 0, v15
	v_cndmask_b32_e32 v9, v12, v9, vcc
	v_cmp_lt_u32_e32 vcc, v10, v15
	v_cndmask_b32_e32 v12, v17, v16, vcc
	v_add_u32_e32 v10, v12, v10
	v_add_u32_e32 v12, -1, v10
	v_cvt_f32_u32_e32 v12, v12
	v_cvt_f32_u32_e32 v14, v14
	v_add_f32_e32 v11, 1.0, v9
	v_fma_f32 v12, v12, s19, 0
	v_fma_f32 v14, v14, s19, 0
	v_mul_f32_e32 v12, v12, v12
	v_fmac_f32_e32 v12, v14, v14
	v_mul_f32_e32 v13, 0x4f800000, v12
	v_cmp_gt_f32_e32 vcc, s20, v12
	v_cndmask_b32_e32 v12, v12, v13, vcc
	v_sqrt_f32_e32 v13, v12
	v_add_u32_e32 v14, -1, v13
	v_add_u32_e32 v15, 1, v13
	v_fma_f32 v16, -v14, v13, v12
	v_fma_f32 v17, -v15, v13, v12
	v_cmp_ge_f32_e64 s[12:13], 0, v16
	v_cndmask_b32_e64 v13, v13, v14, s[12:13]
	v_cmp_lt_f32_e64 s[12:13], 0, v17
	v_cndmask_b32_e64 v13, v13, v15, s[12:13]
	v_mul_f32_e32 v14, 0x37800000, v13
	v_cndmask_b32_e32 v13, v13, v14, vcc
	v_cmp_class_f32_e32 vcc, v12, v5
	v_cndmask_b32_e32 v12, v13, v12, vcc
	v_cmp_nge_f32_e32 vcc, 1.0, v12
	v_cndmask_b32_e32 v9, v11, v9, vcc
	s_cbranch_scc1 .LBB31_370
; %bb.371:
	v_mul_f32_e32 v5, 4.0, v9
	s_mov_b32 s16, 0x461c4000
	v_div_scale_f32 v9, s[12:13], s16, s16, v5
	v_div_scale_f32 v10, vcc, v5, s16, v5
	v_rcp_f32_e32 v11, v9
	v_fma_f32 v12, -v9, v11, 1.0
	v_fmac_f32_e32 v11, v12, v11
	v_mul_f32_e32 v12, v10, v11
	v_fma_f32 v13, -v9, v12, v10
	v_fmac_f32_e32 v12, v13, v11
	v_fma_f32 v9, -v9, v12, v10
	v_div_fmas_f32 v9, v9, v11, v12
	v_div_fixup_f32 v5, v9, s16, v5
.LBB31_372:
	s_or_b64 exec, exec, s[14:15]
	v_or_b32_e32 v9, 0x500, v0
	v_cmp_gt_u32_e64 s[12:13], s23, v9
	s_and_saveexec_b64 s[16:17], s[12:13]
	s_cbranch_execz .LBB31_376
; %bb.373:
	v_add_u32_e32 v6, s22, v9
	v_lshlrev_b32_e32 v9, 12, v6
	s_mov_b32 s14, 0x7ed55d16
	v_add3_u32 v6, v6, v9, s14
	v_lshrrev_b32_e32 v9, 19, v6
	v_xor_b32_e32 v6, v6, v9
	v_xor_b32_e32 v6, 0xc761c23c, v6
	v_lshl_add_u32 v6, v6, 5, v6
	v_mov_b32_e32 v10, 0xaccf6200
	v_add_u32_e32 v9, 0xe9f8cc1d, v6
	v_lshl_add_u32 v6, v6, 9, v10
	v_xor_b32_e32 v6, v9, v6
	v_lshlrev_b32_e32 v9, 3, v6
	s_mov_b32 s14, 0xfd7046c5
	v_add3_u32 v6, v6, v9, s14
	v_xor_b32_sdwa v6, v6, v6 dst_sel:DWORD dst_unused:UNUSED_PAD src0_sel:DWORD src1_sel:WORD_1
	v_xor_b32_e32 v6, 0xb55a4f09, v6
	v_mul_hi_u32 v9, v6, 3
	s_brev_b32 s14, -2
	s_movk_i32 s18, 0x2710
	s_mov_b32 s19, 0xbc8f1391
	v_sub_u32_e32 v10, v6, v9
	v_lshrrev_b32_e32 v10, 1, v10
	v_add_u32_e32 v9, v10, v9
	v_lshrrev_b32_e32 v9, 30, v9
	v_mul_lo_u32 v10, v9, s14
	v_mov_b32_e32 v9, 0
	s_mov_b32 s20, 0xbc8f
	s_brev_b32 s21, 12
	v_sub_u32_e32 v6, v6, v10
	v_max_u32_e32 v10, 1, v6
	s_mov_b32 s24, 0xf800000
	v_mov_b32_e32 v6, 0x260
.LBB31_374:                             ; =>This Inner Loop Header: Depth=1
	v_mul_hi_u32 v11, v10, s19
	v_add_f32_e32 v12, 1.0, v9
	s_add_i32 s18, s18, -2
	s_cmp_lg_u32 s18, 0
	v_lshrrev_b32_e32 v11, 15, v11
	v_mul_u32_u24_e32 v13, 0xadc8, v11
	v_sub_u32_e32 v10, v10, v13
	v_mul_lo_u32 v10, v10, s20
	v_mul_u32_u24_e32 v11, 0xd47, v11
	v_xor_b32_e32 v13, 0x7fffffff, v11
	v_sub_u32_e32 v14, 0, v11
	v_cmp_lt_u32_e32 vcc, v10, v11
	v_cndmask_b32_e32 v11, v14, v13, vcc
	v_add_u32_e32 v10, v11, v10
	v_mul_hi_u32 v13, v10, s19
	v_add_u32_e32 v11, -1, v10
	v_cvt_f32_u32_e32 v11, v11
	v_lshrrev_b32_e32 v13, 15, v13
	v_mul_u32_u24_e32 v14, 0xadc8, v13
	v_sub_u32_e32 v10, v10, v14
	v_mul_lo_u32 v10, v10, s20
	v_mul_u32_u24_e32 v13, 0xd47, v13
	v_xor_b32_e32 v14, 0x7fffffff, v13
	v_sub_u32_e32 v15, 0, v13
	v_cmp_lt_u32_e32 vcc, v10, v13
	v_cndmask_b32_e32 v13, v15, v14, vcc
	v_add_u32_e32 v10, v13, v10
	v_mul_hi_u32 v14, v10, s19
	v_add_u32_e32 v13, -1, v10
	v_cvt_f32_u32_e32 v13, v13
	v_fma_f32 v11, v11, s21, 0
	v_lshrrev_b32_e32 v14, 15, v14
	v_mul_u32_u24_e32 v15, 0xadc8, v14
	v_fma_f32 v13, v13, s21, 0
	v_sub_u32_e32 v10, v10, v15
	v_mul_f32_e32 v13, v13, v13
	v_mul_lo_u32 v10, v10, s20
	v_fmac_f32_e32 v13, v11, v11
	v_mul_f32_e32 v11, 0x4f800000, v13
	v_cmp_gt_f32_e32 vcc, s24, v13
	v_mul_u32_u24_e32 v14, 0xd47, v14
	v_cndmask_b32_e32 v11, v13, v11, vcc
	v_xor_b32_e32 v15, 0x7fffffff, v14
	v_sub_u32_e32 v16, 0, v14
	v_sqrt_f32_e32 v13, v11
	v_cmp_lt_u32_e64 s[14:15], v10, v14
	v_cndmask_b32_e64 v14, v16, v15, s[14:15]
	v_add_u32_e32 v10, v14, v10
	v_mul_hi_u32 v15, v10, s19
	v_add_u32_e32 v16, -1, v13
	v_add_u32_e32 v17, 1, v13
	v_fma_f32 v18, -v16, v13, v11
	v_fma_f32 v19, -v17, v13, v11
	v_cmp_ge_f32_e64 s[14:15], 0, v18
	v_cndmask_b32_e64 v13, v13, v16, s[14:15]
	v_cmp_lt_f32_e64 s[14:15], 0, v19
	v_lshrrev_b32_e32 v15, 15, v15
	v_cndmask_b32_e64 v13, v13, v17, s[14:15]
	v_mul_u32_u24_e32 v17, 0xadc8, v15
	v_add_u32_e32 v14, -1, v10
	v_sub_u32_e32 v10, v10, v17
	v_mul_f32_e32 v16, 0x37800000, v13
	v_mul_lo_u32 v10, v10, s20
	v_cndmask_b32_e32 v13, v13, v16, vcc
	v_cmp_class_f32_e32 vcc, v11, v6
	v_cndmask_b32_e32 v11, v13, v11, vcc
	v_mul_u32_u24_e32 v15, 0xd47, v15
	v_cmp_nge_f32_e32 vcc, 1.0, v11
	v_xor_b32_e32 v16, 0x7fffffff, v15
	v_sub_u32_e32 v17, 0, v15
	v_cndmask_b32_e32 v9, v12, v9, vcc
	v_cmp_lt_u32_e32 vcc, v10, v15
	v_cndmask_b32_e32 v12, v17, v16, vcc
	v_add_u32_e32 v10, v12, v10
	v_add_u32_e32 v12, -1, v10
	v_cvt_f32_u32_e32 v12, v12
	v_cvt_f32_u32_e32 v14, v14
	v_add_f32_e32 v11, 1.0, v9
	v_fma_f32 v12, v12, s21, 0
	v_fma_f32 v14, v14, s21, 0
	v_mul_f32_e32 v12, v12, v12
	v_fmac_f32_e32 v12, v14, v14
	v_mul_f32_e32 v13, 0x4f800000, v12
	v_cmp_gt_f32_e32 vcc, s24, v12
	v_cndmask_b32_e32 v12, v12, v13, vcc
	v_sqrt_f32_e32 v13, v12
	v_add_u32_e32 v14, -1, v13
	v_add_u32_e32 v15, 1, v13
	v_fma_f32 v16, -v14, v13, v12
	v_fma_f32 v17, -v15, v13, v12
	v_cmp_ge_f32_e64 s[14:15], 0, v16
	v_cndmask_b32_e64 v13, v13, v14, s[14:15]
	v_cmp_lt_f32_e64 s[14:15], 0, v17
	v_cndmask_b32_e64 v13, v13, v15, s[14:15]
	v_mul_f32_e32 v14, 0x37800000, v13
	v_cndmask_b32_e32 v13, v13, v14, vcc
	v_cmp_class_f32_e32 vcc, v12, v6
	v_cndmask_b32_e32 v12, v13, v12, vcc
	v_cmp_nge_f32_e32 vcc, 1.0, v12
	v_cndmask_b32_e32 v9, v11, v9, vcc
	s_cbranch_scc1 .LBB31_374
; %bb.375:
	v_mul_f32_e32 v6, 4.0, v9
	s_mov_b32 s18, 0x461c4000
	v_div_scale_f32 v9, s[14:15], s18, s18, v6
	v_div_scale_f32 v10, vcc, v6, s18, v6
	v_rcp_f32_e32 v11, v9
	v_fma_f32 v12, -v9, v11, 1.0
	v_fmac_f32_e32 v11, v12, v11
	v_mul_f32_e32 v12, v10, v11
	v_fma_f32 v13, -v9, v12, v10
	v_fmac_f32_e32 v12, v13, v11
	v_fma_f32 v9, -v9, v12, v10
	v_div_fmas_f32 v9, v9, v11, v12
	v_div_fixup_f32 v6, v9, s18, v6
.LBB31_376:
	s_or_b64 exec, exec, s[16:17]
	v_or_b32_e32 v9, 0x600, v0
	v_cmp_gt_u32_e64 s[14:15], s23, v9
	s_and_saveexec_b64 s[18:19], s[14:15]
	s_cbranch_execz .LBB31_380
; %bb.377:
	v_add_u32_e32 v7, s22, v9
	v_lshlrev_b32_e32 v9, 12, v7
	s_mov_b32 s16, 0x7ed55d16
	v_add3_u32 v7, v7, v9, s16
	v_lshrrev_b32_e32 v9, 19, v7
	v_xor_b32_e32 v7, v7, v9
	v_xor_b32_e32 v7, 0xc761c23c, v7
	v_lshl_add_u32 v7, v7, 5, v7
	v_mov_b32_e32 v10, 0xaccf6200
	v_add_u32_e32 v9, 0xe9f8cc1d, v7
	v_lshl_add_u32 v7, v7, 9, v10
	v_xor_b32_e32 v7, v9, v7
	v_lshlrev_b32_e32 v9, 3, v7
	s_mov_b32 s16, 0xfd7046c5
	v_add3_u32 v7, v7, v9, s16
	v_xor_b32_sdwa v7, v7, v7 dst_sel:DWORD dst_unused:UNUSED_PAD src0_sel:DWORD src1_sel:WORD_1
	v_xor_b32_e32 v7, 0xb55a4f09, v7
	v_mul_hi_u32 v9, v7, 3
	s_brev_b32 s16, -2
	s_movk_i32 s20, 0x2710
	s_mov_b32 s21, 0xbc8f1391
	v_sub_u32_e32 v10, v7, v9
	v_lshrrev_b32_e32 v10, 1, v10
	v_add_u32_e32 v9, v10, v9
	v_lshrrev_b32_e32 v9, 30, v9
	v_mul_lo_u32 v10, v9, s16
	v_mov_b32_e32 v9, 0
	s_mov_b32 s24, 0xbc8f
	s_brev_b32 s25, 12
	v_sub_u32_e32 v7, v7, v10
	v_max_u32_e32 v10, 1, v7
	s_mov_b32 s26, 0xf800000
	v_mov_b32_e32 v7, 0x260
.LBB31_378:                             ; =>This Inner Loop Header: Depth=1
	v_mul_hi_u32 v11, v10, s21
	v_add_f32_e32 v12, 1.0, v9
	s_add_i32 s20, s20, -2
	s_cmp_lg_u32 s20, 0
	v_lshrrev_b32_e32 v11, 15, v11
	v_mul_u32_u24_e32 v13, 0xadc8, v11
	v_sub_u32_e32 v10, v10, v13
	v_mul_lo_u32 v10, v10, s24
	v_mul_u32_u24_e32 v11, 0xd47, v11
	v_xor_b32_e32 v13, 0x7fffffff, v11
	v_sub_u32_e32 v14, 0, v11
	v_cmp_lt_u32_e32 vcc, v10, v11
	v_cndmask_b32_e32 v11, v14, v13, vcc
	v_add_u32_e32 v10, v11, v10
	v_mul_hi_u32 v13, v10, s21
	v_add_u32_e32 v11, -1, v10
	v_cvt_f32_u32_e32 v11, v11
	v_lshrrev_b32_e32 v13, 15, v13
	v_mul_u32_u24_e32 v14, 0xadc8, v13
	v_sub_u32_e32 v10, v10, v14
	v_mul_lo_u32 v10, v10, s24
	v_mul_u32_u24_e32 v13, 0xd47, v13
	v_xor_b32_e32 v14, 0x7fffffff, v13
	v_sub_u32_e32 v15, 0, v13
	v_cmp_lt_u32_e32 vcc, v10, v13
	v_cndmask_b32_e32 v13, v15, v14, vcc
	v_add_u32_e32 v10, v13, v10
	v_mul_hi_u32 v14, v10, s21
	v_add_u32_e32 v13, -1, v10
	v_cvt_f32_u32_e32 v13, v13
	v_fma_f32 v11, v11, s25, 0
	v_lshrrev_b32_e32 v14, 15, v14
	v_mul_u32_u24_e32 v15, 0xadc8, v14
	v_fma_f32 v13, v13, s25, 0
	v_sub_u32_e32 v10, v10, v15
	v_mul_f32_e32 v13, v13, v13
	v_mul_lo_u32 v10, v10, s24
	v_fmac_f32_e32 v13, v11, v11
	v_mul_f32_e32 v11, 0x4f800000, v13
	v_cmp_gt_f32_e32 vcc, s26, v13
	v_mul_u32_u24_e32 v14, 0xd47, v14
	v_cndmask_b32_e32 v11, v13, v11, vcc
	v_xor_b32_e32 v15, 0x7fffffff, v14
	v_sub_u32_e32 v16, 0, v14
	v_sqrt_f32_e32 v13, v11
	v_cmp_lt_u32_e64 s[16:17], v10, v14
	v_cndmask_b32_e64 v14, v16, v15, s[16:17]
	v_add_u32_e32 v10, v14, v10
	v_mul_hi_u32 v15, v10, s21
	v_add_u32_e32 v16, -1, v13
	v_add_u32_e32 v17, 1, v13
	v_fma_f32 v18, -v16, v13, v11
	v_fma_f32 v19, -v17, v13, v11
	v_cmp_ge_f32_e64 s[16:17], 0, v18
	v_cndmask_b32_e64 v13, v13, v16, s[16:17]
	v_cmp_lt_f32_e64 s[16:17], 0, v19
	v_lshrrev_b32_e32 v15, 15, v15
	v_cndmask_b32_e64 v13, v13, v17, s[16:17]
	v_mul_u32_u24_e32 v17, 0xadc8, v15
	v_add_u32_e32 v14, -1, v10
	v_sub_u32_e32 v10, v10, v17
	v_mul_f32_e32 v16, 0x37800000, v13
	v_mul_lo_u32 v10, v10, s24
	v_cndmask_b32_e32 v13, v13, v16, vcc
	v_cmp_class_f32_e32 vcc, v11, v7
	v_cndmask_b32_e32 v11, v13, v11, vcc
	v_mul_u32_u24_e32 v15, 0xd47, v15
	v_cmp_nge_f32_e32 vcc, 1.0, v11
	v_xor_b32_e32 v16, 0x7fffffff, v15
	v_sub_u32_e32 v17, 0, v15
	v_cndmask_b32_e32 v9, v12, v9, vcc
	v_cmp_lt_u32_e32 vcc, v10, v15
	v_cndmask_b32_e32 v12, v17, v16, vcc
	v_add_u32_e32 v10, v12, v10
	v_add_u32_e32 v12, -1, v10
	v_cvt_f32_u32_e32 v12, v12
	v_cvt_f32_u32_e32 v14, v14
	v_add_f32_e32 v11, 1.0, v9
	v_fma_f32 v12, v12, s25, 0
	v_fma_f32 v14, v14, s25, 0
	v_mul_f32_e32 v12, v12, v12
	v_fmac_f32_e32 v12, v14, v14
	v_mul_f32_e32 v13, 0x4f800000, v12
	v_cmp_gt_f32_e32 vcc, s26, v12
	v_cndmask_b32_e32 v12, v12, v13, vcc
	v_sqrt_f32_e32 v13, v12
	v_add_u32_e32 v14, -1, v13
	v_add_u32_e32 v15, 1, v13
	v_fma_f32 v16, -v14, v13, v12
	v_fma_f32 v17, -v15, v13, v12
	v_cmp_ge_f32_e64 s[16:17], 0, v16
	v_cndmask_b32_e64 v13, v13, v14, s[16:17]
	v_cmp_lt_f32_e64 s[16:17], 0, v17
	v_cndmask_b32_e64 v13, v13, v15, s[16:17]
	v_mul_f32_e32 v14, 0x37800000, v13
	v_cndmask_b32_e32 v13, v13, v14, vcc
	v_cmp_class_f32_e32 vcc, v12, v7
	v_cndmask_b32_e32 v12, v13, v12, vcc
	v_cmp_nge_f32_e32 vcc, 1.0, v12
	v_cndmask_b32_e32 v9, v11, v9, vcc
	s_cbranch_scc1 .LBB31_378
; %bb.379:
	v_mul_f32_e32 v7, 4.0, v9
	s_mov_b32 s20, 0x461c4000
	v_div_scale_f32 v9, s[16:17], s20, s20, v7
	v_div_scale_f32 v10, vcc, v7, s20, v7
	v_rcp_f32_e32 v11, v9
	v_fma_f32 v12, -v9, v11, 1.0
	v_fmac_f32_e32 v11, v12, v11
	v_mul_f32_e32 v12, v10, v11
	v_fma_f32 v13, -v9, v12, v10
	v_fmac_f32_e32 v12, v13, v11
	v_fma_f32 v9, -v9, v12, v10
	v_div_fmas_f32 v9, v9, v11, v12
	v_div_fixup_f32 v7, v9, s20, v7
.LBB31_380:
	s_or_b64 exec, exec, s[18:19]
	v_or_b32_e32 v9, 0x700, v0
	v_cmp_gt_u32_e64 s[16:17], s23, v9
	s_and_saveexec_b64 s[20:21], s[16:17]
	s_cbranch_execz .LBB31_384
; %bb.381:
	v_add_u32_e32 v8, s22, v9
	v_lshlrev_b32_e32 v9, 12, v8
	s_mov_b32 s18, 0x7ed55d16
	v_add3_u32 v8, v8, v9, s18
	v_lshrrev_b32_e32 v9, 19, v8
	v_xor_b32_e32 v8, v8, v9
	v_xor_b32_e32 v8, 0xc761c23c, v8
	v_lshl_add_u32 v8, v8, 5, v8
	v_mov_b32_e32 v10, 0xaccf6200
	v_add_u32_e32 v9, 0xe9f8cc1d, v8
	v_lshl_add_u32 v8, v8, 9, v10
	v_xor_b32_e32 v8, v9, v8
	v_lshlrev_b32_e32 v9, 3, v8
	s_mov_b32 s18, 0xfd7046c5
	v_add3_u32 v8, v8, v9, s18
	v_xor_b32_sdwa v8, v8, v8 dst_sel:DWORD dst_unused:UNUSED_PAD src0_sel:DWORD src1_sel:WORD_1
	v_xor_b32_e32 v8, 0xb55a4f09, v8
	v_mul_hi_u32 v9, v8, 3
	s_brev_b32 s18, -2
	s_movk_i32 s22, 0x2710
	s_mov_b32 s24, 0xbc8f1391
	v_sub_u32_e32 v10, v8, v9
	v_lshrrev_b32_e32 v10, 1, v10
	v_add_u32_e32 v9, v10, v9
	v_lshrrev_b32_e32 v9, 30, v9
	v_mul_lo_u32 v10, v9, s18
	v_mov_b32_e32 v9, 0
	s_mov_b32 s25, 0xbc8f
	s_brev_b32 s26, 12
	v_sub_u32_e32 v8, v8, v10
	v_max_u32_e32 v10, 1, v8
	s_mov_b32 s27, 0xf800000
	v_mov_b32_e32 v8, 0x260
.LBB31_382:                             ; =>This Inner Loop Header: Depth=1
	v_mul_hi_u32 v11, v10, s24
	v_add_f32_e32 v12, 1.0, v9
	s_add_i32 s22, s22, -2
	s_cmp_lg_u32 s22, 0
	v_lshrrev_b32_e32 v11, 15, v11
	v_mul_u32_u24_e32 v13, 0xadc8, v11
	v_sub_u32_e32 v10, v10, v13
	v_mul_lo_u32 v10, v10, s25
	v_mul_u32_u24_e32 v11, 0xd47, v11
	v_xor_b32_e32 v13, 0x7fffffff, v11
	v_sub_u32_e32 v14, 0, v11
	v_cmp_lt_u32_e32 vcc, v10, v11
	v_cndmask_b32_e32 v11, v14, v13, vcc
	v_add_u32_e32 v10, v11, v10
	v_mul_hi_u32 v13, v10, s24
	v_add_u32_e32 v11, -1, v10
	v_cvt_f32_u32_e32 v11, v11
	v_lshrrev_b32_e32 v13, 15, v13
	v_mul_u32_u24_e32 v14, 0xadc8, v13
	v_sub_u32_e32 v10, v10, v14
	v_mul_lo_u32 v10, v10, s25
	v_mul_u32_u24_e32 v13, 0xd47, v13
	v_xor_b32_e32 v14, 0x7fffffff, v13
	v_sub_u32_e32 v15, 0, v13
	v_cmp_lt_u32_e32 vcc, v10, v13
	v_cndmask_b32_e32 v13, v15, v14, vcc
	v_add_u32_e32 v10, v13, v10
	v_mul_hi_u32 v14, v10, s24
	v_add_u32_e32 v13, -1, v10
	v_cvt_f32_u32_e32 v13, v13
	v_fma_f32 v11, v11, s26, 0
	v_lshrrev_b32_e32 v14, 15, v14
	v_mul_u32_u24_e32 v15, 0xadc8, v14
	v_fma_f32 v13, v13, s26, 0
	v_sub_u32_e32 v10, v10, v15
	v_mul_f32_e32 v13, v13, v13
	v_mul_lo_u32 v10, v10, s25
	v_fmac_f32_e32 v13, v11, v11
	v_mul_f32_e32 v11, 0x4f800000, v13
	v_cmp_gt_f32_e32 vcc, s27, v13
	v_mul_u32_u24_e32 v14, 0xd47, v14
	v_cndmask_b32_e32 v11, v13, v11, vcc
	v_xor_b32_e32 v15, 0x7fffffff, v14
	v_sub_u32_e32 v16, 0, v14
	v_sqrt_f32_e32 v13, v11
	v_cmp_lt_u32_e64 s[18:19], v10, v14
	v_cndmask_b32_e64 v14, v16, v15, s[18:19]
	v_add_u32_e32 v10, v14, v10
	v_mul_hi_u32 v15, v10, s24
	v_add_u32_e32 v16, -1, v13
	v_add_u32_e32 v17, 1, v13
	v_fma_f32 v18, -v16, v13, v11
	v_fma_f32 v19, -v17, v13, v11
	v_cmp_ge_f32_e64 s[18:19], 0, v18
	v_cndmask_b32_e64 v13, v13, v16, s[18:19]
	v_cmp_lt_f32_e64 s[18:19], 0, v19
	v_lshrrev_b32_e32 v15, 15, v15
	v_cndmask_b32_e64 v13, v13, v17, s[18:19]
	v_mul_u32_u24_e32 v17, 0xadc8, v15
	v_add_u32_e32 v14, -1, v10
	v_sub_u32_e32 v10, v10, v17
	v_mul_f32_e32 v16, 0x37800000, v13
	v_mul_lo_u32 v10, v10, s25
	v_cndmask_b32_e32 v13, v13, v16, vcc
	v_cmp_class_f32_e32 vcc, v11, v8
	v_cndmask_b32_e32 v11, v13, v11, vcc
	v_mul_u32_u24_e32 v15, 0xd47, v15
	v_cmp_nge_f32_e32 vcc, 1.0, v11
	v_xor_b32_e32 v16, 0x7fffffff, v15
	v_sub_u32_e32 v17, 0, v15
	v_cndmask_b32_e32 v9, v12, v9, vcc
	v_cmp_lt_u32_e32 vcc, v10, v15
	v_cndmask_b32_e32 v12, v17, v16, vcc
	v_add_u32_e32 v10, v12, v10
	v_add_u32_e32 v12, -1, v10
	v_cvt_f32_u32_e32 v12, v12
	v_cvt_f32_u32_e32 v14, v14
	v_add_f32_e32 v11, 1.0, v9
	v_fma_f32 v12, v12, s26, 0
	v_fma_f32 v14, v14, s26, 0
	v_mul_f32_e32 v12, v12, v12
	v_fmac_f32_e32 v12, v14, v14
	v_mul_f32_e32 v13, 0x4f800000, v12
	v_cmp_gt_f32_e32 vcc, s27, v12
	v_cndmask_b32_e32 v12, v12, v13, vcc
	v_sqrt_f32_e32 v13, v12
	v_add_u32_e32 v14, -1, v13
	v_add_u32_e32 v15, 1, v13
	v_fma_f32 v16, -v14, v13, v12
	v_fma_f32 v17, -v15, v13, v12
	v_cmp_ge_f32_e64 s[18:19], 0, v16
	v_cndmask_b32_e64 v13, v13, v14, s[18:19]
	v_cmp_lt_f32_e64 s[18:19], 0, v17
	v_cndmask_b32_e64 v13, v13, v15, s[18:19]
	v_mul_f32_e32 v14, 0x37800000, v13
	v_cndmask_b32_e32 v13, v13, v14, vcc
	v_cmp_class_f32_e32 vcc, v12, v8
	v_cndmask_b32_e32 v12, v13, v12, vcc
	v_cmp_nge_f32_e32 vcc, 1.0, v12
	v_cndmask_b32_e32 v9, v11, v9, vcc
	s_cbranch_scc1 .LBB31_382
; %bb.383:
	v_mul_f32_e32 v8, 4.0, v9
	s_mov_b32 s22, 0x461c4000
	v_div_scale_f32 v9, s[18:19], s22, s22, v8
	v_div_scale_f32 v10, vcc, v8, s22, v8
	v_rcp_f32_e32 v11, v9
	v_fma_f32 v12, -v9, v11, 1.0
	v_fmac_f32_e32 v11, v12, v11
	v_mul_f32_e32 v12, v10, v11
	v_fma_f32 v13, -v9, v12, v10
	v_fmac_f32_e32 v12, v13, v11
	v_fma_f32 v9, -v9, v12, v10
	v_div_fmas_f32 v9, v9, v11, v12
	v_div_fixup_f32 v8, v9, s22, v8
.LBB31_384:
	s_or_b64 exec, exec, s[20:21]
	v_add_f32_e32 v2, v1, v2
	v_cndmask_b32_e64 v1, v1, v2, s[0:1]
	v_add_f32_e32 v2, v3, v1
	v_cndmask_b32_e64 v1, v1, v2, s[2:3]
	;; [unrolled: 2-line block ×7, first 2 shown]
	v_mbcnt_lo_u32_b32 v2, -1, 0
	v_mbcnt_hi_u32_b32 v2, -1, v2
	v_and_b32_e32 v4, 63, v2
	v_cmp_ne_u32_e32 vcc, 63, v4
	v_addc_co_u32_e32 v3, vcc, 0, v2, vcc
	v_lshlrev_b32_e32 v3, 2, v3
	ds_bpermute_b32 v3, v3, v1
	s_min_u32 s8, s23, 0x100
	v_and_b32_e32 v5, 0xc0, v0
	v_sub_u32_e64 v5, s8, v5 clamp
	v_add_u32_e32 v6, 1, v4
	v_cmp_gt_u32_e64 s[0:1], 62, v4
	s_waitcnt lgkmcnt(0)
	v_add_f32_e32 v3, v1, v3
	v_cmp_lt_u32_e32 vcc, v6, v5
	v_cndmask_b32_e64 v6, 0, 2, s[0:1]
	v_cndmask_b32_e32 v3, v1, v3, vcc
	v_add_lshl_u32 v6, v6, v2, 2
	ds_bpermute_b32 v6, v6, v3
	v_add_u32_e32 v7, 2, v4
	v_cmp_lt_u32_e64 s[0:1], v7, v5
	v_add_u32_e32 v7, 4, v4
	s_waitcnt lgkmcnt(0)
	v_add_f32_e32 v6, v3, v6
	v_cndmask_b32_e64 v3, v3, v6, s[0:1]
	v_cmp_gt_u32_e64 s[0:1], 60, v4
	v_cndmask_b32_e64 v6, 0, 4, s[0:1]
	v_add_lshl_u32 v6, v6, v2, 2
	ds_bpermute_b32 v6, v6, v3
	v_cmp_lt_u32_e64 s[0:1], v7, v5
	v_add_u32_e32 v7, 8, v4
	s_waitcnt lgkmcnt(0)
	v_add_f32_e32 v6, v3, v6
	v_cndmask_b32_e64 v3, v3, v6, s[0:1]
	v_cmp_gt_u32_e64 s[0:1], 56, v4
	v_cndmask_b32_e64 v6, 0, 8, s[0:1]
	v_add_lshl_u32 v6, v6, v2, 2
	ds_bpermute_b32 v6, v6, v3
	;; [unrolled: 9-line block ×3, first 2 shown]
	v_cmp_lt_u32_e64 s[0:1], v7, v5
	v_add_u32_e32 v4, 32, v4
	s_waitcnt lgkmcnt(0)
	v_add_f32_e32 v6, v3, v6
	v_cndmask_b32_e64 v6, v3, v6, s[0:1]
	v_lshlrev_b32_e32 v3, 2, v2
	v_or_b32_e32 v7, 0x80, v3
	ds_bpermute_b32 v7, v7, v6
	v_cmp_lt_u32_e64 s[0:1], v4, v5
	s_waitcnt lgkmcnt(0)
	v_add_f32_e32 v7, v6, v7
	v_cndmask_b32_e64 v4, v6, v7, s[0:1]
	v_cndmask_b32_e32 v1, v1, v4, vcc
	v_cmp_eq_u32_e32 vcc, 0, v2
	s_and_saveexec_b64 s[0:1], vcc
; %bb.385:
	v_lshrrev_b32_e32 v4, 4, v0
	v_and_b32_e32 v4, 12, v4
	ds_write_b32 v4, v1 offset:96
; %bb.386:
	s_or_b64 exec, exec, s[0:1]
	v_cmp_gt_u32_e32 vcc, 4, v0
	s_waitcnt lgkmcnt(0)
	s_barrier
	s_and_saveexec_b64 s[2:3], vcc
	s_cbranch_execz .LBB31_388
; %bb.387:
	ds_read_b32 v1, v3 offset:96
	v_and_b32_e32 v4, 3, v2
	v_cmp_ne_u32_e32 vcc, 3, v4
	v_addc_co_u32_e32 v2, vcc, 0, v2, vcc
	v_lshlrev_b32_e32 v2, 2, v2
	s_waitcnt lgkmcnt(0)
	ds_bpermute_b32 v2, v2, v1
	s_add_i32 s8, s8, 63
	s_lshr_b32 s0, s8, 6
	v_add_u32_e32 v5, 1, v4
	v_cmp_gt_u32_e32 vcc, s0, v5
	s_waitcnt lgkmcnt(0)
	v_add_f32_e32 v2, v1, v2
	v_cndmask_b32_e32 v2, v1, v2, vcc
	v_or_b32_e32 v3, 8, v3
	ds_bpermute_b32 v3, v3, v2
	v_add_u32_e32 v4, 2, v4
	v_cmp_gt_u32_e64 s[0:1], s0, v4
	s_waitcnt lgkmcnt(0)
	v_add_f32_e32 v3, v2, v3
	v_cndmask_b32_e64 v2, v2, v3, s[0:1]
	v_cndmask_b32_e32 v1, v1, v2, vcc
.LBB31_388:
	s_or_b64 exec, exec, s[2:3]
.LBB31_389:
	v_cmp_eq_u32_e64 s[0:1], 0, v0
	s_branch .LBB31_474
.LBB31_390:
	s_cmp_gt_i32 s70, 1
	s_cbranch_scc0 .LBB31_407
; %bb.391:
	s_cmp_gt_i32 s70, 3
	s_cbranch_scc0 .LBB31_408
; %bb.392:
	s_cmp_eq_u32 s70, 4
	s_cbranch_scc0 .LBB31_409
; %bb.393:
	s_lshl_b32 s10, s6, 10
	s_mov_b32 s7, 0
	s_lshr_b64 s[0:1], s[72:73], 10
	s_add_i32 s14, s71, s10
	s_cmp_lg_u64 s[0:1], s[6:7]
	s_cbranch_scc0 .LBB31_411
; %bb.394:
	v_add_u32_e32 v2, s14, v0
	v_lshlrev_b32_e32 v1, 12, v2
	s_mov_b32 s0, 0x7ed55d16
	v_add3_u32 v1, v2, v1, s0
	v_lshrrev_b32_e32 v3, 19, v1
	v_xor_b32_e32 v1, v1, v3
	v_xor_b32_e32 v1, 0xc761c23c, v1
	v_lshl_add_u32 v1, v1, 5, v1
	v_mov_b32_e32 v4, 0xaccf6200
	v_add_u32_e32 v3, 0xe9f8cc1d, v1
	v_lshl_add_u32 v1, v1, 9, v4
	v_xor_b32_e32 v1, v3, v1
	v_lshlrev_b32_e32 v3, 3, v1
	s_mov_b32 s0, 0xfd7046c5
	v_add3_u32 v1, v1, v3, s0
	v_xor_b32_sdwa v1, v1, v1 dst_sel:DWORD dst_unused:UNUSED_PAD src0_sel:DWORD src1_sel:WORD_1
	v_xor_b32_e32 v3, 0xb55a4f09, v1
	v_mul_hi_u32 v1, v3, 3
	s_brev_b32 s0, -2
	s_movk_i32 s2, 0x2710
	s_mov_b32 s3, 0xbc8f1391
	v_sub_u32_e32 v4, v3, v1
	v_lshrrev_b32_e32 v4, 1, v4
	v_add_u32_e32 v1, v4, v1
	v_lshrrev_b32_e32 v1, 30, v1
	v_mul_lo_u32 v4, v1, s0
	v_mov_b32_e32 v1, 0
	s_mov_b32 s8, 0xbc8f
	s_brev_b32 s9, 12
	v_sub_u32_e32 v3, v3, v4
	v_max_u32_e32 v4, 1, v3
	s_mov_b32 s11, 0xf800000
	v_mov_b32_e32 v3, 0x260
.LBB31_395:                             ; =>This Inner Loop Header: Depth=1
	v_mul_hi_u32 v5, v4, s3
	v_add_f32_e32 v6, 1.0, v1
	s_add_i32 s2, s2, -2
	s_cmp_lg_u32 s2, 0
	v_lshrrev_b32_e32 v5, 15, v5
	v_mul_u32_u24_e32 v7, 0xadc8, v5
	v_sub_u32_e32 v4, v4, v7
	v_mul_lo_u32 v4, v4, s8
	v_mul_u32_u24_e32 v5, 0xd47, v5
	v_xor_b32_e32 v7, 0x7fffffff, v5
	v_sub_u32_e32 v8, 0, v5
	v_cmp_lt_u32_e32 vcc, v4, v5
	v_cndmask_b32_e32 v5, v8, v7, vcc
	v_add_u32_e32 v4, v5, v4
	v_mul_hi_u32 v7, v4, s3
	v_add_u32_e32 v5, -1, v4
	v_cvt_f32_u32_e32 v5, v5
	v_lshrrev_b32_e32 v7, 15, v7
	v_mul_u32_u24_e32 v8, 0xadc8, v7
	v_sub_u32_e32 v4, v4, v8
	v_mul_lo_u32 v4, v4, s8
	v_mul_u32_u24_e32 v7, 0xd47, v7
	v_xor_b32_e32 v8, 0x7fffffff, v7
	v_sub_u32_e32 v9, 0, v7
	v_cmp_lt_u32_e32 vcc, v4, v7
	v_cndmask_b32_e32 v7, v9, v8, vcc
	v_add_u32_e32 v4, v7, v4
	v_mul_hi_u32 v8, v4, s3
	v_add_u32_e32 v7, -1, v4
	v_cvt_f32_u32_e32 v7, v7
	v_fma_f32 v5, v5, s9, 0
	v_lshrrev_b32_e32 v8, 15, v8
	v_mul_u32_u24_e32 v9, 0xadc8, v8
	v_fma_f32 v7, v7, s9, 0
	v_sub_u32_e32 v4, v4, v9
	v_mul_f32_e32 v7, v7, v7
	v_mul_lo_u32 v4, v4, s8
	v_fmac_f32_e32 v7, v5, v5
	v_mul_f32_e32 v5, 0x4f800000, v7
	v_cmp_gt_f32_e32 vcc, s11, v7
	v_mul_u32_u24_e32 v8, 0xd47, v8
	v_cndmask_b32_e32 v5, v7, v5, vcc
	v_xor_b32_e32 v9, 0x7fffffff, v8
	v_sub_u32_e32 v10, 0, v8
	v_sqrt_f32_e32 v7, v5
	v_cmp_lt_u32_e64 s[0:1], v4, v8
	v_cndmask_b32_e64 v8, v10, v9, s[0:1]
	v_add_u32_e32 v4, v8, v4
	v_mul_hi_u32 v9, v4, s3
	v_add_u32_e32 v10, -1, v7
	v_add_u32_e32 v11, 1, v7
	v_fma_f32 v12, -v10, v7, v5
	v_fma_f32 v13, -v11, v7, v5
	v_cmp_ge_f32_e64 s[0:1], 0, v12
	v_cndmask_b32_e64 v7, v7, v10, s[0:1]
	v_cmp_lt_f32_e64 s[0:1], 0, v13
	v_lshrrev_b32_e32 v9, 15, v9
	v_cndmask_b32_e64 v7, v7, v11, s[0:1]
	v_mul_u32_u24_e32 v11, 0xadc8, v9
	v_add_u32_e32 v8, -1, v4
	v_sub_u32_e32 v4, v4, v11
	v_mul_f32_e32 v10, 0x37800000, v7
	v_mul_lo_u32 v4, v4, s8
	v_cndmask_b32_e32 v7, v7, v10, vcc
	v_cmp_class_f32_e32 vcc, v5, v3
	v_cndmask_b32_e32 v5, v7, v5, vcc
	v_mul_u32_u24_e32 v9, 0xd47, v9
	v_cmp_nge_f32_e32 vcc, 1.0, v5
	v_xor_b32_e32 v10, 0x7fffffff, v9
	v_sub_u32_e32 v11, 0, v9
	v_cndmask_b32_e32 v1, v6, v1, vcc
	v_cmp_lt_u32_e32 vcc, v4, v9
	v_cndmask_b32_e32 v6, v11, v10, vcc
	v_add_u32_e32 v4, v6, v4
	v_add_u32_e32 v6, -1, v4
	v_cvt_f32_u32_e32 v6, v6
	v_cvt_f32_u32_e32 v8, v8
	v_add_f32_e32 v5, 1.0, v1
	v_fma_f32 v6, v6, s9, 0
	v_fma_f32 v8, v8, s9, 0
	v_mul_f32_e32 v6, v6, v6
	v_fmac_f32_e32 v6, v8, v8
	v_mul_f32_e32 v7, 0x4f800000, v6
	v_cmp_gt_f32_e32 vcc, s11, v6
	v_cndmask_b32_e32 v6, v6, v7, vcc
	v_sqrt_f32_e32 v7, v6
	v_add_u32_e32 v8, -1, v7
	v_add_u32_e32 v9, 1, v7
	v_fma_f32 v10, -v8, v7, v6
	v_fma_f32 v11, -v9, v7, v6
	v_cmp_ge_f32_e64 s[0:1], 0, v10
	v_cndmask_b32_e64 v7, v7, v8, s[0:1]
	v_cmp_lt_f32_e64 s[0:1], 0, v11
	v_cndmask_b32_e64 v7, v7, v9, s[0:1]
	v_mul_f32_e32 v8, 0x37800000, v7
	v_cndmask_b32_e32 v7, v7, v8, vcc
	v_cmp_class_f32_e32 vcc, v6, v3
	v_cndmask_b32_e32 v6, v7, v6, vcc
	v_cmp_nge_f32_e32 vcc, 1.0, v6
	v_cndmask_b32_e32 v1, v5, v1, vcc
	s_cbranch_scc1 .LBB31_395
; %bb.396:
	v_lshl_add_u32 v3, v2, 12, v2
	v_add_u32_e32 v2, 0x7ee55e16, v3
	v_lshrrev_b32_e32 v4, 19, v2
	v_xor_b32_e32 v2, v2, v4
	v_xor_b32_e32 v2, 0xc761c23c, v2
	v_lshl_add_u32 v2, v2, 5, v2
	v_mov_b32_e32 v5, 0xaccf6200
	v_add_u32_e32 v4, 0xe9f8cc1d, v2
	v_lshl_add_u32 v2, v2, 9, v5
	v_xor_b32_e32 v2, v4, v2
	v_lshlrev_b32_e32 v4, 3, v2
	s_mov_b32 s0, 0xfd7046c5
	v_add3_u32 v2, v2, v4, s0
	v_xor_b32_sdwa v2, v2, v2 dst_sel:DWORD dst_unused:UNUSED_PAD src0_sel:DWORD src1_sel:WORD_1
	v_xor_b32_e32 v4, 0xb55a4f09, v2
	v_mul_hi_u32 v2, v4, 3
	s_brev_b32 s0, -2
	s_movk_i32 s2, 0x2710
	s_mov_b32 s3, 0xbc8f1391
	v_sub_u32_e32 v5, v4, v2
	v_lshrrev_b32_e32 v5, 1, v5
	v_add_u32_e32 v2, v5, v2
	v_lshrrev_b32_e32 v2, 30, v2
	v_mul_lo_u32 v5, v2, s0
	v_mov_b32_e32 v2, 0
	s_mov_b32 s8, 0xbc8f
	s_brev_b32 s9, 12
	v_sub_u32_e32 v4, v4, v5
	v_max_u32_e32 v5, 1, v4
	s_mov_b32 s11, 0xf800000
	v_mov_b32_e32 v4, 0x260
.LBB31_397:                             ; =>This Inner Loop Header: Depth=1
	v_mul_hi_u32 v6, v5, s3
	v_add_f32_e32 v7, 1.0, v2
	s_add_i32 s2, s2, -2
	s_cmp_lg_u32 s2, 0
	v_lshrrev_b32_e32 v6, 15, v6
	v_mul_u32_u24_e32 v8, 0xadc8, v6
	v_sub_u32_e32 v5, v5, v8
	v_mul_lo_u32 v5, v5, s8
	v_mul_u32_u24_e32 v6, 0xd47, v6
	v_xor_b32_e32 v8, 0x7fffffff, v6
	v_sub_u32_e32 v9, 0, v6
	v_cmp_lt_u32_e32 vcc, v5, v6
	v_cndmask_b32_e32 v6, v9, v8, vcc
	v_add_u32_e32 v5, v6, v5
	v_mul_hi_u32 v8, v5, s3
	v_add_u32_e32 v6, -1, v5
	v_cvt_f32_u32_e32 v6, v6
	v_lshrrev_b32_e32 v8, 15, v8
	v_mul_u32_u24_e32 v9, 0xadc8, v8
	v_sub_u32_e32 v5, v5, v9
	v_mul_lo_u32 v5, v5, s8
	v_mul_u32_u24_e32 v8, 0xd47, v8
	v_xor_b32_e32 v9, 0x7fffffff, v8
	v_sub_u32_e32 v10, 0, v8
	v_cmp_lt_u32_e32 vcc, v5, v8
	v_cndmask_b32_e32 v8, v10, v9, vcc
	v_add_u32_e32 v5, v8, v5
	v_mul_hi_u32 v9, v5, s3
	v_add_u32_e32 v8, -1, v5
	v_cvt_f32_u32_e32 v8, v8
	v_fma_f32 v6, v6, s9, 0
	v_lshrrev_b32_e32 v9, 15, v9
	v_mul_u32_u24_e32 v10, 0xadc8, v9
	v_fma_f32 v8, v8, s9, 0
	v_sub_u32_e32 v5, v5, v10
	v_mul_f32_e32 v8, v8, v8
	v_mul_lo_u32 v5, v5, s8
	v_fmac_f32_e32 v8, v6, v6
	v_mul_f32_e32 v6, 0x4f800000, v8
	v_cmp_gt_f32_e32 vcc, s11, v8
	v_mul_u32_u24_e32 v9, 0xd47, v9
	v_cndmask_b32_e32 v6, v8, v6, vcc
	v_xor_b32_e32 v10, 0x7fffffff, v9
	v_sub_u32_e32 v11, 0, v9
	v_sqrt_f32_e32 v8, v6
	v_cmp_lt_u32_e64 s[0:1], v5, v9
	v_cndmask_b32_e64 v9, v11, v10, s[0:1]
	v_add_u32_e32 v5, v9, v5
	v_mul_hi_u32 v10, v5, s3
	v_add_u32_e32 v11, -1, v8
	v_add_u32_e32 v12, 1, v8
	v_fma_f32 v13, -v11, v8, v6
	v_fma_f32 v14, -v12, v8, v6
	v_cmp_ge_f32_e64 s[0:1], 0, v13
	v_cndmask_b32_e64 v8, v8, v11, s[0:1]
	v_cmp_lt_f32_e64 s[0:1], 0, v14
	v_lshrrev_b32_e32 v10, 15, v10
	v_cndmask_b32_e64 v8, v8, v12, s[0:1]
	v_mul_u32_u24_e32 v12, 0xadc8, v10
	v_add_u32_e32 v9, -1, v5
	v_sub_u32_e32 v5, v5, v12
	v_mul_f32_e32 v11, 0x37800000, v8
	v_mul_lo_u32 v5, v5, s8
	v_cndmask_b32_e32 v8, v8, v11, vcc
	v_cmp_class_f32_e32 vcc, v6, v4
	v_cndmask_b32_e32 v6, v8, v6, vcc
	v_mul_u32_u24_e32 v10, 0xd47, v10
	v_cmp_nge_f32_e32 vcc, 1.0, v6
	v_xor_b32_e32 v11, 0x7fffffff, v10
	v_sub_u32_e32 v12, 0, v10
	v_cndmask_b32_e32 v2, v7, v2, vcc
	v_cmp_lt_u32_e32 vcc, v5, v10
	v_cndmask_b32_e32 v7, v12, v11, vcc
	v_add_u32_e32 v5, v7, v5
	v_add_u32_e32 v7, -1, v5
	v_cvt_f32_u32_e32 v7, v7
	v_cvt_f32_u32_e32 v9, v9
	v_add_f32_e32 v6, 1.0, v2
	v_fma_f32 v7, v7, s9, 0
	v_fma_f32 v9, v9, s9, 0
	v_mul_f32_e32 v7, v7, v7
	v_fmac_f32_e32 v7, v9, v9
	v_mul_f32_e32 v8, 0x4f800000, v7
	v_cmp_gt_f32_e32 vcc, s11, v7
	v_cndmask_b32_e32 v7, v7, v8, vcc
	v_sqrt_f32_e32 v8, v7
	v_add_u32_e32 v9, -1, v8
	v_add_u32_e32 v10, 1, v8
	v_fma_f32 v11, -v9, v8, v7
	v_fma_f32 v12, -v10, v8, v7
	v_cmp_ge_f32_e64 s[0:1], 0, v11
	v_cndmask_b32_e64 v8, v8, v9, s[0:1]
	v_cmp_lt_f32_e64 s[0:1], 0, v12
	v_cndmask_b32_e64 v8, v8, v10, s[0:1]
	v_mul_f32_e32 v9, 0x37800000, v8
	v_cndmask_b32_e32 v8, v8, v9, vcc
	v_cmp_class_f32_e32 vcc, v7, v4
	v_cndmask_b32_e32 v7, v8, v7, vcc
	v_cmp_nge_f32_e32 vcc, 1.0, v7
	v_cndmask_b32_e32 v2, v6, v2, vcc
	s_cbranch_scc1 .LBB31_397
; %bb.398:
	v_add_u32_e32 v4, 0x7ef55f16, v3
	v_lshrrev_b32_e32 v5, 19, v4
	v_xor_b32_e32 v4, v4, v5
	v_xor_b32_e32 v4, 0xc761c23c, v4
	v_lshl_add_u32 v4, v4, 5, v4
	v_mov_b32_e32 v6, 0xaccf6200
	v_add_u32_e32 v5, 0xe9f8cc1d, v4
	v_lshl_add_u32 v4, v4, 9, v6
	v_xor_b32_e32 v4, v5, v4
	v_lshlrev_b32_e32 v5, 3, v4
	s_mov_b32 s0, 0xfd7046c5
	v_add3_u32 v4, v4, v5, s0
	v_xor_b32_sdwa v4, v4, v4 dst_sel:DWORD dst_unused:UNUSED_PAD src0_sel:DWORD src1_sel:WORD_1
	v_xor_b32_e32 v5, 0xb55a4f09, v4
	v_mul_hi_u32 v4, v5, 3
	s_brev_b32 s0, -2
	s_movk_i32 s2, 0x2710
	s_mov_b32 s3, 0xbc8f1391
	v_sub_u32_e32 v6, v5, v4
	v_lshrrev_b32_e32 v6, 1, v6
	v_add_u32_e32 v4, v6, v4
	v_lshrrev_b32_e32 v4, 30, v4
	v_mul_lo_u32 v6, v4, s0
	v_mov_b32_e32 v4, 0
	s_mov_b32 s8, 0xbc8f
	s_brev_b32 s9, 12
	v_sub_u32_e32 v5, v5, v6
	v_max_u32_e32 v6, 1, v5
	s_mov_b32 s11, 0xf800000
	v_mov_b32_e32 v5, 0x260
.LBB31_399:                             ; =>This Inner Loop Header: Depth=1
	v_mul_hi_u32 v7, v6, s3
	v_add_f32_e32 v8, 1.0, v4
	s_add_i32 s2, s2, -2
	s_cmp_lg_u32 s2, 0
	v_lshrrev_b32_e32 v7, 15, v7
	v_mul_u32_u24_e32 v9, 0xadc8, v7
	v_sub_u32_e32 v6, v6, v9
	v_mul_lo_u32 v6, v6, s8
	v_mul_u32_u24_e32 v7, 0xd47, v7
	v_xor_b32_e32 v9, 0x7fffffff, v7
	v_sub_u32_e32 v10, 0, v7
	v_cmp_lt_u32_e32 vcc, v6, v7
	v_cndmask_b32_e32 v7, v10, v9, vcc
	v_add_u32_e32 v6, v7, v6
	v_mul_hi_u32 v9, v6, s3
	v_add_u32_e32 v7, -1, v6
	v_cvt_f32_u32_e32 v7, v7
	v_lshrrev_b32_e32 v9, 15, v9
	v_mul_u32_u24_e32 v10, 0xadc8, v9
	v_sub_u32_e32 v6, v6, v10
	v_mul_lo_u32 v6, v6, s8
	v_mul_u32_u24_e32 v9, 0xd47, v9
	v_xor_b32_e32 v10, 0x7fffffff, v9
	v_sub_u32_e32 v11, 0, v9
	v_cmp_lt_u32_e32 vcc, v6, v9
	v_cndmask_b32_e32 v9, v11, v10, vcc
	v_add_u32_e32 v6, v9, v6
	v_mul_hi_u32 v10, v6, s3
	v_add_u32_e32 v9, -1, v6
	v_cvt_f32_u32_e32 v9, v9
	v_fma_f32 v7, v7, s9, 0
	v_lshrrev_b32_e32 v10, 15, v10
	v_mul_u32_u24_e32 v11, 0xadc8, v10
	v_fma_f32 v9, v9, s9, 0
	v_sub_u32_e32 v6, v6, v11
	v_mul_f32_e32 v9, v9, v9
	v_mul_lo_u32 v6, v6, s8
	v_fmac_f32_e32 v9, v7, v7
	v_mul_f32_e32 v7, 0x4f800000, v9
	v_cmp_gt_f32_e32 vcc, s11, v9
	v_mul_u32_u24_e32 v10, 0xd47, v10
	v_cndmask_b32_e32 v7, v9, v7, vcc
	v_xor_b32_e32 v11, 0x7fffffff, v10
	v_sub_u32_e32 v12, 0, v10
	v_sqrt_f32_e32 v9, v7
	v_cmp_lt_u32_e64 s[0:1], v6, v10
	v_cndmask_b32_e64 v10, v12, v11, s[0:1]
	v_add_u32_e32 v6, v10, v6
	v_mul_hi_u32 v11, v6, s3
	v_add_u32_e32 v12, -1, v9
	v_add_u32_e32 v13, 1, v9
	v_fma_f32 v14, -v12, v9, v7
	v_fma_f32 v15, -v13, v9, v7
	v_cmp_ge_f32_e64 s[0:1], 0, v14
	v_cndmask_b32_e64 v9, v9, v12, s[0:1]
	v_cmp_lt_f32_e64 s[0:1], 0, v15
	v_lshrrev_b32_e32 v11, 15, v11
	v_cndmask_b32_e64 v9, v9, v13, s[0:1]
	v_mul_u32_u24_e32 v13, 0xadc8, v11
	v_add_u32_e32 v10, -1, v6
	v_sub_u32_e32 v6, v6, v13
	v_mul_f32_e32 v12, 0x37800000, v9
	v_mul_lo_u32 v6, v6, s8
	v_cndmask_b32_e32 v9, v9, v12, vcc
	v_cmp_class_f32_e32 vcc, v7, v5
	v_cndmask_b32_e32 v7, v9, v7, vcc
	v_mul_u32_u24_e32 v11, 0xd47, v11
	v_cmp_nge_f32_e32 vcc, 1.0, v7
	v_xor_b32_e32 v12, 0x7fffffff, v11
	v_sub_u32_e32 v13, 0, v11
	v_cndmask_b32_e32 v4, v8, v4, vcc
	v_cmp_lt_u32_e32 vcc, v6, v11
	v_cndmask_b32_e32 v8, v13, v12, vcc
	v_add_u32_e32 v6, v8, v6
	v_add_u32_e32 v8, -1, v6
	v_cvt_f32_u32_e32 v8, v8
	v_cvt_f32_u32_e32 v10, v10
	v_add_f32_e32 v7, 1.0, v4
	v_fma_f32 v8, v8, s9, 0
	v_fma_f32 v10, v10, s9, 0
	v_mul_f32_e32 v8, v8, v8
	v_fmac_f32_e32 v8, v10, v10
	v_mul_f32_e32 v9, 0x4f800000, v8
	v_cmp_gt_f32_e32 vcc, s11, v8
	v_cndmask_b32_e32 v8, v8, v9, vcc
	v_sqrt_f32_e32 v9, v8
	v_add_u32_e32 v10, -1, v9
	v_add_u32_e32 v11, 1, v9
	v_fma_f32 v12, -v10, v9, v8
	v_fma_f32 v13, -v11, v9, v8
	v_cmp_ge_f32_e64 s[0:1], 0, v12
	v_cndmask_b32_e64 v9, v9, v10, s[0:1]
	v_cmp_lt_f32_e64 s[0:1], 0, v13
	v_cndmask_b32_e64 v9, v9, v11, s[0:1]
	v_mul_f32_e32 v10, 0x37800000, v9
	v_cndmask_b32_e32 v9, v9, v10, vcc
	v_cmp_class_f32_e32 vcc, v8, v5
	v_cndmask_b32_e32 v8, v9, v8, vcc
	v_cmp_nge_f32_e32 vcc, 1.0, v8
	v_cndmask_b32_e32 v4, v7, v4, vcc
	s_cbranch_scc1 .LBB31_399
; %bb.400:
	v_add_u32_e32 v3, 0x7f056016, v3
	v_lshrrev_b32_e32 v5, 19, v3
	v_xor_b32_e32 v3, v3, v5
	v_xor_b32_e32 v3, 0xc761c23c, v3
	v_lshl_add_u32 v3, v3, 5, v3
	v_mov_b32_e32 v6, 0xaccf6200
	v_add_u32_e32 v5, 0xe9f8cc1d, v3
	v_lshl_add_u32 v3, v3, 9, v6
	v_xor_b32_e32 v3, v5, v3
	v_lshlrev_b32_e32 v5, 3, v3
	s_mov_b32 s0, 0xfd7046c5
	v_add3_u32 v3, v3, v5, s0
	v_xor_b32_sdwa v3, v3, v3 dst_sel:DWORD dst_unused:UNUSED_PAD src0_sel:DWORD src1_sel:WORD_1
	v_xor_b32_e32 v5, 0xb55a4f09, v3
	v_mul_hi_u32 v3, v5, 3
	s_brev_b32 s0, -2
	s_movk_i32 s2, 0x2710
	s_mov_b32 s3, 0xbc8f1391
	v_sub_u32_e32 v6, v5, v3
	v_lshrrev_b32_e32 v6, 1, v6
	v_add_u32_e32 v3, v6, v3
	v_lshrrev_b32_e32 v3, 30, v3
	v_mul_lo_u32 v6, v3, s0
	v_mov_b32_e32 v3, 0
	s_mov_b32 s8, 0xbc8f
	s_brev_b32 s9, 12
	v_sub_u32_e32 v5, v5, v6
	v_max_u32_e32 v6, 1, v5
	s_mov_b32 s11, 0xf800000
	v_mov_b32_e32 v5, 0x260
.LBB31_401:                             ; =>This Inner Loop Header: Depth=1
	v_mul_hi_u32 v7, v6, s3
	v_add_f32_e32 v8, 1.0, v3
	s_add_i32 s2, s2, -2
	s_cmp_lg_u32 s2, 0
	v_lshrrev_b32_e32 v7, 15, v7
	v_mul_u32_u24_e32 v9, 0xadc8, v7
	v_sub_u32_e32 v6, v6, v9
	v_mul_lo_u32 v6, v6, s8
	v_mul_u32_u24_e32 v7, 0xd47, v7
	v_xor_b32_e32 v9, 0x7fffffff, v7
	v_sub_u32_e32 v10, 0, v7
	v_cmp_lt_u32_e32 vcc, v6, v7
	v_cndmask_b32_e32 v7, v10, v9, vcc
	v_add_u32_e32 v6, v7, v6
	v_mul_hi_u32 v9, v6, s3
	v_add_u32_e32 v7, -1, v6
	v_cvt_f32_u32_e32 v7, v7
	v_lshrrev_b32_e32 v9, 15, v9
	v_mul_u32_u24_e32 v10, 0xadc8, v9
	v_sub_u32_e32 v6, v6, v10
	v_mul_lo_u32 v6, v6, s8
	v_mul_u32_u24_e32 v9, 0xd47, v9
	v_xor_b32_e32 v10, 0x7fffffff, v9
	v_sub_u32_e32 v11, 0, v9
	v_cmp_lt_u32_e32 vcc, v6, v9
	v_cndmask_b32_e32 v9, v11, v10, vcc
	v_add_u32_e32 v6, v9, v6
	v_mul_hi_u32 v10, v6, s3
	v_add_u32_e32 v9, -1, v6
	v_cvt_f32_u32_e32 v9, v9
	v_fma_f32 v7, v7, s9, 0
	v_lshrrev_b32_e32 v10, 15, v10
	v_mul_u32_u24_e32 v11, 0xadc8, v10
	v_fma_f32 v9, v9, s9, 0
	v_sub_u32_e32 v6, v6, v11
	v_mul_f32_e32 v9, v9, v9
	v_mul_lo_u32 v6, v6, s8
	v_fmac_f32_e32 v9, v7, v7
	v_mul_f32_e32 v7, 0x4f800000, v9
	v_cmp_gt_f32_e32 vcc, s11, v9
	v_mul_u32_u24_e32 v10, 0xd47, v10
	v_cndmask_b32_e32 v7, v9, v7, vcc
	v_xor_b32_e32 v11, 0x7fffffff, v10
	v_sub_u32_e32 v12, 0, v10
	v_sqrt_f32_e32 v9, v7
	v_cmp_lt_u32_e64 s[0:1], v6, v10
	v_cndmask_b32_e64 v10, v12, v11, s[0:1]
	v_add_u32_e32 v6, v10, v6
	v_mul_hi_u32 v11, v6, s3
	v_add_u32_e32 v12, -1, v9
	v_add_u32_e32 v13, 1, v9
	v_fma_f32 v14, -v12, v9, v7
	v_fma_f32 v15, -v13, v9, v7
	v_cmp_ge_f32_e64 s[0:1], 0, v14
	v_cndmask_b32_e64 v9, v9, v12, s[0:1]
	v_cmp_lt_f32_e64 s[0:1], 0, v15
	v_lshrrev_b32_e32 v11, 15, v11
	v_cndmask_b32_e64 v9, v9, v13, s[0:1]
	v_mul_u32_u24_e32 v13, 0xadc8, v11
	v_add_u32_e32 v10, -1, v6
	v_sub_u32_e32 v6, v6, v13
	v_mul_f32_e32 v12, 0x37800000, v9
	v_mul_lo_u32 v6, v6, s8
	v_cndmask_b32_e32 v9, v9, v12, vcc
	v_cmp_class_f32_e32 vcc, v7, v5
	v_cndmask_b32_e32 v7, v9, v7, vcc
	v_mul_u32_u24_e32 v11, 0xd47, v11
	v_cmp_nge_f32_e32 vcc, 1.0, v7
	v_xor_b32_e32 v12, 0x7fffffff, v11
	v_sub_u32_e32 v13, 0, v11
	v_cndmask_b32_e32 v3, v8, v3, vcc
	v_cmp_lt_u32_e32 vcc, v6, v11
	v_cndmask_b32_e32 v8, v13, v12, vcc
	v_add_u32_e32 v6, v8, v6
	v_add_u32_e32 v8, -1, v6
	v_cvt_f32_u32_e32 v8, v8
	v_cvt_f32_u32_e32 v10, v10
	v_add_f32_e32 v7, 1.0, v3
	v_fma_f32 v8, v8, s9, 0
	v_fma_f32 v10, v10, s9, 0
	v_mul_f32_e32 v8, v8, v8
	v_fmac_f32_e32 v8, v10, v10
	v_mul_f32_e32 v9, 0x4f800000, v8
	v_cmp_gt_f32_e32 vcc, s11, v8
	v_cndmask_b32_e32 v8, v8, v9, vcc
	v_sqrt_f32_e32 v9, v8
	v_add_u32_e32 v10, -1, v9
	v_add_u32_e32 v11, 1, v9
	v_fma_f32 v12, -v10, v9, v8
	v_fma_f32 v13, -v11, v9, v8
	v_cmp_ge_f32_e64 s[0:1], 0, v12
	v_cndmask_b32_e64 v9, v9, v10, s[0:1]
	v_cmp_lt_f32_e64 s[0:1], 0, v13
	v_cndmask_b32_e64 v9, v9, v11, s[0:1]
	v_mul_f32_e32 v10, 0x37800000, v9
	v_cndmask_b32_e32 v9, v9, v10, vcc
	v_cmp_class_f32_e32 vcc, v8, v5
	v_cndmask_b32_e32 v8, v9, v8, vcc
	v_cmp_nge_f32_e32 vcc, 1.0, v8
	v_cndmask_b32_e32 v3, v7, v3, vcc
	s_cbranch_scc1 .LBB31_401
; %bb.402:
	v_mul_f32_e32 v1, 4.0, v1
	s_mov_b32 s11, 0x461c4000
	v_div_scale_f32 v5, s[0:1], s11, s11, v1
	v_mul_f32_e32 v2, 4.0, v2
	v_div_scale_f32 v7, vcc, v1, s11, v1
	v_div_scale_f32 v6, s[0:1], s11, s11, v2
	v_div_scale_f32 v8, s[0:1], v2, s11, v2
	v_mul_f32_e32 v4, 4.0, v4
	v_div_scale_f32 v9, s[2:3], s11, s11, v4
	v_div_scale_f32 v12, s[2:3], v4, s11, v4
	v_mul_f32_e32 v3, 4.0, v3
	v_rcp_f32_e32 v10, v5
	v_fma_f32 v13, -v5, v10, 1.0
	v_fmac_f32_e32 v10, v13, v10
	v_mul_f32_e32 v13, v7, v10
	v_rcp_f32_e32 v11, v6
	v_fma_f32 v15, -v5, v13, v7
	v_fmac_f32_e32 v13, v15, v10
	v_fma_f32 v5, -v5, v13, v7
	v_div_scale_f32 v7, s[8:9], s11, s11, v3
	v_fma_f32 v14, -v6, v11, 1.0
	v_fmac_f32_e32 v11, v14, v11
	v_div_fmas_f32 v5, v5, v10, v13
	v_mul_f32_e32 v10, v8, v11
	v_fma_f32 v13, -v6, v10, v8
	v_fmac_f32_e32 v10, v13, v11
	v_div_scale_f32 v13, s[8:9], v3, s11, v3
	v_rcp_f32_e32 v14, v9
	v_fma_f32 v6, -v6, v10, v8
	s_mov_b64 vcc, s[0:1]
	v_div_fmas_f32 v6, v6, v11, v10
	v_fma_f32 v8, -v9, v14, 1.0
	v_fmac_f32_e32 v14, v8, v14
	v_mul_f32_e32 v8, v12, v14
	v_fma_f32 v10, -v9, v8, v12
	v_fmac_f32_e32 v8, v10, v14
	v_rcp_f32_e32 v10, v7
	v_fma_f32 v9, -v9, v8, v12
	s_mov_b64 vcc, s[2:3]
	v_div_fmas_f32 v8, v9, v14, v8
	v_fma_f32 v9, -v7, v10, 1.0
	v_fmac_f32_e32 v10, v9, v10
	v_mul_f32_e32 v9, v13, v10
	v_fma_f32 v11, -v7, v9, v13
	v_fmac_f32_e32 v9, v11, v10
	v_fma_f32 v7, -v7, v9, v13
	s_mov_b64 vcc, s[8:9]
	v_div_fmas_f32 v7, v7, v10, v9
	v_div_fixup_f32 v1, v5, s11, v1
	v_div_fixup_f32 v2, v6, s11, v2
	v_add_f32_e32 v1, v1, v2
	v_mbcnt_lo_u32_b32 v2, -1, 0
	v_mbcnt_hi_u32_b32 v2, -1, v2
	v_cmp_eq_u32_e32 vcc, 0, v2
	v_div_fixup_f32 v4, v8, s11, v4
	v_add_f32_e32 v1, v1, v4
	v_div_fixup_f32 v3, v7, s11, v3
	v_add_f32_e32 v1, v1, v3
	v_lshlrev_b32_e32 v3, 2, v2
	v_or_b32_e32 v4, 0xfc, v3
	v_add_f32_dpp v1, v1, v1 quad_perm:[1,0,3,2] row_mask:0xf bank_mask:0xf bound_ctrl:1
	s_nop 1
	v_add_f32_dpp v1, v1, v1 quad_perm:[2,3,0,1] row_mask:0xf bank_mask:0xf bound_ctrl:1
	s_nop 1
	v_add_f32_dpp v1, v1, v1 row_ror:4 row_mask:0xf bank_mask:0xf bound_ctrl:1
	s_nop 1
	v_add_f32_dpp v1, v1, v1 row_ror:8 row_mask:0xf bank_mask:0xf bound_ctrl:1
	s_nop 1
	v_add_f32_dpp v1, v1, v1 row_bcast:15 row_mask:0xf bank_mask:0xf bound_ctrl:1
	s_nop 1
	v_add_f32_dpp v1, v1, v1 row_bcast:31 row_mask:0xf bank_mask:0xf bound_ctrl:1
	ds_bpermute_b32 v1, v4, v1
	s_and_saveexec_b64 s[0:1], vcc
	s_cbranch_execz .LBB31_404
; %bb.403:
	v_lshrrev_b32_e32 v4, 4, v0
	v_and_b32_e32 v4, 12, v4
	s_waitcnt lgkmcnt(0)
	ds_write_b32 v4, v1 offset:64
.LBB31_404:
	s_or_b64 exec, exec, s[0:1]
	v_cmp_gt_u32_e32 vcc, 64, v0
	s_waitcnt lgkmcnt(0)
	s_barrier
	s_and_saveexec_b64 s[0:1], vcc
	s_cbranch_execz .LBB31_406
; %bb.405:
	v_and_b32_e32 v1, 3, v2
	v_lshlrev_b32_e32 v4, 2, v1
	ds_read_b32 v4, v4 offset:64
	v_cmp_ne_u32_e32 vcc, 3, v1
	v_addc_co_u32_e32 v1, vcc, 0, v2, vcc
	v_lshlrev_b32_e32 v1, 2, v1
	s_waitcnt lgkmcnt(0)
	ds_bpermute_b32 v1, v1, v4
	v_or_b32_e32 v2, 8, v3
	s_waitcnt lgkmcnt(0)
	v_add_f32_e32 v1, v4, v1
	ds_bpermute_b32 v2, v2, v1
	s_waitcnt lgkmcnt(0)
	v_add_f32_e32 v1, v1, v2
.LBB31_406:
	s_or_b64 exec, exec, s[0:1]
	s_mov_b64 s[0:1], 0
	s_branch .LBB31_412
.LBB31_407:
                                        ; implicit-def: $vgpr1
	s_cbranch_execnz .LBB31_463
	s_branch .LBB31_474
.LBB31_408:
                                        ; implicit-def: $vgpr1
	s_cbranch_execz .LBB31_410
	s_branch .LBB31_435
.LBB31_409:
                                        ; implicit-def: $vgpr1
.LBB31_410:
	s_branch .LBB31_474
.LBB31_411:
	s_mov_b64 s[0:1], -1
                                        ; implicit-def: $vgpr1
.LBB31_412:
	s_and_b64 vcc, exec, s[0:1]
	s_cbranch_vccz .LBB31_434
; %bb.413:
	s_sub_i32 s15, s72, s10
	v_mov_b32_e32 v1, 0
	v_cmp_gt_u32_e32 vcc, s15, v0
	v_mov_b32_e32 v2, v1
	v_mov_b32_e32 v3, v1
	;; [unrolled: 1-line block ×3, first 2 shown]
	s_and_saveexec_b64 s[2:3], vcc
	s_cbranch_execz .LBB31_417
; %bb.414:
	v_add_u32_e32 v2, s14, v0
	v_lshlrev_b32_e32 v3, 12, v2
	s_mov_b32 s0, 0x7ed55d16
	v_add3_u32 v2, v2, v3, s0
	v_lshrrev_b32_e32 v3, 19, v2
	v_xor_b32_e32 v2, v2, v3
	v_xor_b32_e32 v2, 0xc761c23c, v2
	v_lshl_add_u32 v2, v2, 5, v2
	v_mov_b32_e32 v4, 0xaccf6200
	v_add_u32_e32 v3, 0xe9f8cc1d, v2
	v_lshl_add_u32 v2, v2, 9, v4
	v_xor_b32_e32 v2, v3, v2
	v_lshlrev_b32_e32 v3, 3, v2
	s_mov_b32 s0, 0xfd7046c5
	v_add3_u32 v2, v2, v3, s0
	v_xor_b32_sdwa v2, v2, v2 dst_sel:DWORD dst_unused:UNUSED_PAD src0_sel:DWORD src1_sel:WORD_1
	v_xor_b32_e32 v2, 0xb55a4f09, v2
	v_mul_hi_u32 v3, v2, 3
	s_brev_b32 s0, -2
	s_movk_i32 s8, 0x2710
	s_mov_b32 s9, 0xbc8f1391
	v_sub_u32_e32 v4, v2, v3
	v_lshrrev_b32_e32 v4, 1, v4
	v_add_u32_e32 v3, v4, v3
	v_lshrrev_b32_e32 v3, 30, v3
	v_mul_lo_u32 v3, v3, s0
	s_mov_b32 s10, 0xbc8f
	s_brev_b32 s11, 12
	s_mov_b32 s12, 0xf800000
	v_sub_u32_e32 v2, v2, v3
	v_max_u32_e32 v3, 1, v2
	v_mov_b32_e32 v2, 0x260
.LBB31_415:                             ; =>This Inner Loop Header: Depth=1
	v_mul_hi_u32 v4, v3, s9
	v_add_f32_e32 v5, 1.0, v1
	s_add_i32 s8, s8, -2
	s_cmp_lg_u32 s8, 0
	v_lshrrev_b32_e32 v4, 15, v4
	v_mul_u32_u24_e32 v6, 0xadc8, v4
	v_sub_u32_e32 v3, v3, v6
	v_mul_lo_u32 v3, v3, s10
	v_mul_u32_u24_e32 v4, 0xd47, v4
	v_xor_b32_e32 v6, 0x7fffffff, v4
	v_sub_u32_e32 v7, 0, v4
	v_cmp_lt_u32_e32 vcc, v3, v4
	v_cndmask_b32_e32 v4, v7, v6, vcc
	v_add_u32_e32 v3, v4, v3
	v_mul_hi_u32 v6, v3, s9
	v_add_u32_e32 v4, -1, v3
	v_cvt_f32_u32_e32 v4, v4
	v_lshrrev_b32_e32 v6, 15, v6
	v_mul_u32_u24_e32 v7, 0xadc8, v6
	v_sub_u32_e32 v3, v3, v7
	v_mul_lo_u32 v3, v3, s10
	v_mul_u32_u24_e32 v6, 0xd47, v6
	v_xor_b32_e32 v7, 0x7fffffff, v6
	v_sub_u32_e32 v8, 0, v6
	v_cmp_lt_u32_e32 vcc, v3, v6
	v_cndmask_b32_e32 v6, v8, v7, vcc
	v_add_u32_e32 v3, v6, v3
	v_mul_hi_u32 v7, v3, s9
	v_add_u32_e32 v6, -1, v3
	v_cvt_f32_u32_e32 v6, v6
	v_fma_f32 v4, v4, s11, 0
	v_lshrrev_b32_e32 v7, 15, v7
	v_mul_u32_u24_e32 v8, 0xadc8, v7
	v_fma_f32 v6, v6, s11, 0
	v_sub_u32_e32 v3, v3, v8
	v_mul_f32_e32 v6, v6, v6
	v_mul_lo_u32 v3, v3, s10
	v_fmac_f32_e32 v6, v4, v4
	v_mul_f32_e32 v4, 0x4f800000, v6
	v_cmp_gt_f32_e32 vcc, s12, v6
	v_mul_u32_u24_e32 v7, 0xd47, v7
	v_cndmask_b32_e32 v4, v6, v4, vcc
	v_xor_b32_e32 v8, 0x7fffffff, v7
	v_sub_u32_e32 v9, 0, v7
	v_sqrt_f32_e32 v6, v4
	v_cmp_lt_u32_e64 s[0:1], v3, v7
	v_cndmask_b32_e64 v7, v9, v8, s[0:1]
	v_add_u32_e32 v3, v7, v3
	v_mul_hi_u32 v8, v3, s9
	v_add_u32_e32 v9, -1, v6
	v_add_u32_e32 v10, 1, v6
	v_fma_f32 v11, -v9, v6, v4
	v_fma_f32 v12, -v10, v6, v4
	v_cmp_ge_f32_e64 s[0:1], 0, v11
	v_cndmask_b32_e64 v6, v6, v9, s[0:1]
	v_cmp_lt_f32_e64 s[0:1], 0, v12
	v_lshrrev_b32_e32 v8, 15, v8
	v_cndmask_b32_e64 v6, v6, v10, s[0:1]
	v_mul_u32_u24_e32 v10, 0xadc8, v8
	v_add_u32_e32 v7, -1, v3
	v_sub_u32_e32 v3, v3, v10
	v_mul_f32_e32 v9, 0x37800000, v6
	v_mul_lo_u32 v3, v3, s10
	v_cndmask_b32_e32 v6, v6, v9, vcc
	v_cmp_class_f32_e32 vcc, v4, v2
	v_cndmask_b32_e32 v4, v6, v4, vcc
	v_mul_u32_u24_e32 v8, 0xd47, v8
	v_cmp_nge_f32_e32 vcc, 1.0, v4
	v_xor_b32_e32 v9, 0x7fffffff, v8
	v_sub_u32_e32 v10, 0, v8
	v_cndmask_b32_e32 v1, v5, v1, vcc
	v_cmp_lt_u32_e32 vcc, v3, v8
	v_cndmask_b32_e32 v5, v10, v9, vcc
	v_add_u32_e32 v3, v5, v3
	v_add_u32_e32 v5, -1, v3
	v_cvt_f32_u32_e32 v5, v5
	v_cvt_f32_u32_e32 v7, v7
	v_add_f32_e32 v4, 1.0, v1
	v_fma_f32 v5, v5, s11, 0
	v_fma_f32 v7, v7, s11, 0
	v_mul_f32_e32 v5, v5, v5
	v_fmac_f32_e32 v5, v7, v7
	v_mul_f32_e32 v6, 0x4f800000, v5
	v_cmp_gt_f32_e32 vcc, s12, v5
	v_cndmask_b32_e32 v5, v5, v6, vcc
	v_sqrt_f32_e32 v6, v5
	v_add_u32_e32 v7, -1, v6
	v_add_u32_e32 v8, 1, v6
	v_fma_f32 v9, -v7, v6, v5
	v_fma_f32 v10, -v8, v6, v5
	v_cmp_ge_f32_e64 s[0:1], 0, v9
	v_cndmask_b32_e64 v6, v6, v7, s[0:1]
	v_cmp_lt_f32_e64 s[0:1], 0, v10
	v_cndmask_b32_e64 v6, v6, v8, s[0:1]
	v_mul_f32_e32 v7, 0x37800000, v6
	v_cndmask_b32_e32 v6, v6, v7, vcc
	v_cmp_class_f32_e32 vcc, v5, v2
	v_cndmask_b32_e32 v5, v6, v5, vcc
	v_cmp_nge_f32_e32 vcc, 1.0, v5
	v_cndmask_b32_e32 v1, v4, v1, vcc
	s_cbranch_scc1 .LBB31_415
; %bb.416:
	v_mul_f32_e32 v1, 4.0, v1
	s_mov_b32 s8, 0x461c4000
	v_div_scale_f32 v2, s[0:1], s8, s8, v1
	v_div_scale_f32 v3, vcc, v1, s8, v1
	v_rcp_f32_e32 v4, v2
	v_fma_f32 v5, -v2, v4, 1.0
	v_fmac_f32_e32 v4, v5, v4
	v_mul_f32_e32 v5, v3, v4
	v_fma_f32 v6, -v2, v5, v3
	v_fmac_f32_e32 v5, v6, v4
	v_fma_f32 v2, -v2, v5, v3
	v_div_fmas_f32 v4, v2, v4, v5
	v_mov_b32_e32 v2, 0
	v_mov_b32_e32 v3, v2
	v_div_fixup_f32 v1, v4, s8, v1
	v_mov_b32_e32 v4, v2
.LBB31_417:
	s_or_b64 exec, exec, s[2:3]
	v_or_b32_e32 v5, 0x100, v0
	v_cmp_gt_u32_e64 s[0:1], s15, v5
	s_and_saveexec_b64 s[8:9], s[0:1]
	s_cbranch_execz .LBB31_421
; %bb.418:
	v_add_u32_e32 v2, s14, v5
	v_lshlrev_b32_e32 v5, 12, v2
	s_mov_b32 s2, 0x7ed55d16
	v_add3_u32 v2, v2, v5, s2
	v_lshrrev_b32_e32 v5, 19, v2
	v_xor_b32_e32 v2, v2, v5
	v_xor_b32_e32 v2, 0xc761c23c, v2
	v_lshl_add_u32 v2, v2, 5, v2
	v_mov_b32_e32 v6, 0xaccf6200
	v_add_u32_e32 v5, 0xe9f8cc1d, v2
	v_lshl_add_u32 v2, v2, 9, v6
	v_xor_b32_e32 v2, v5, v2
	v_lshlrev_b32_e32 v5, 3, v2
	s_mov_b32 s2, 0xfd7046c5
	v_add3_u32 v2, v2, v5, s2
	v_xor_b32_sdwa v2, v2, v2 dst_sel:DWORD dst_unused:UNUSED_PAD src0_sel:DWORD src1_sel:WORD_1
	v_xor_b32_e32 v2, 0xb55a4f09, v2
	v_mul_hi_u32 v5, v2, 3
	s_brev_b32 s2, -2
	s_movk_i32 s10, 0x2710
	s_mov_b32 s11, 0xbc8f1391
	v_sub_u32_e32 v6, v2, v5
	v_lshrrev_b32_e32 v6, 1, v6
	v_add_u32_e32 v5, v6, v5
	v_lshrrev_b32_e32 v5, 30, v5
	v_mul_lo_u32 v6, v5, s2
	v_mov_b32_e32 v5, 0
	s_mov_b32 s12, 0xbc8f
	s_brev_b32 s13, 12
	v_sub_u32_e32 v2, v2, v6
	v_max_u32_e32 v6, 1, v2
	s_mov_b32 s16, 0xf800000
	v_mov_b32_e32 v2, 0x260
.LBB31_419:                             ; =>This Inner Loop Header: Depth=1
	v_mul_hi_u32 v7, v6, s11
	v_add_f32_e32 v8, 1.0, v5
	s_add_i32 s10, s10, -2
	s_cmp_lg_u32 s10, 0
	v_lshrrev_b32_e32 v7, 15, v7
	v_mul_u32_u24_e32 v9, 0xadc8, v7
	v_sub_u32_e32 v6, v6, v9
	v_mul_lo_u32 v6, v6, s12
	v_mul_u32_u24_e32 v7, 0xd47, v7
	v_xor_b32_e32 v9, 0x7fffffff, v7
	v_sub_u32_e32 v10, 0, v7
	v_cmp_lt_u32_e32 vcc, v6, v7
	v_cndmask_b32_e32 v7, v10, v9, vcc
	v_add_u32_e32 v6, v7, v6
	v_mul_hi_u32 v9, v6, s11
	v_add_u32_e32 v7, -1, v6
	v_cvt_f32_u32_e32 v7, v7
	v_lshrrev_b32_e32 v9, 15, v9
	v_mul_u32_u24_e32 v10, 0xadc8, v9
	v_sub_u32_e32 v6, v6, v10
	v_mul_lo_u32 v6, v6, s12
	v_mul_u32_u24_e32 v9, 0xd47, v9
	v_xor_b32_e32 v10, 0x7fffffff, v9
	v_sub_u32_e32 v11, 0, v9
	v_cmp_lt_u32_e32 vcc, v6, v9
	v_cndmask_b32_e32 v9, v11, v10, vcc
	v_add_u32_e32 v6, v9, v6
	v_mul_hi_u32 v10, v6, s11
	v_add_u32_e32 v9, -1, v6
	v_cvt_f32_u32_e32 v9, v9
	v_fma_f32 v7, v7, s13, 0
	v_lshrrev_b32_e32 v10, 15, v10
	v_mul_u32_u24_e32 v11, 0xadc8, v10
	v_fma_f32 v9, v9, s13, 0
	v_sub_u32_e32 v6, v6, v11
	v_mul_f32_e32 v9, v9, v9
	v_mul_lo_u32 v6, v6, s12
	v_fmac_f32_e32 v9, v7, v7
	v_mul_f32_e32 v7, 0x4f800000, v9
	v_cmp_gt_f32_e32 vcc, s16, v9
	v_mul_u32_u24_e32 v10, 0xd47, v10
	v_cndmask_b32_e32 v7, v9, v7, vcc
	v_xor_b32_e32 v11, 0x7fffffff, v10
	v_sub_u32_e32 v12, 0, v10
	v_sqrt_f32_e32 v9, v7
	v_cmp_lt_u32_e64 s[2:3], v6, v10
	v_cndmask_b32_e64 v10, v12, v11, s[2:3]
	v_add_u32_e32 v6, v10, v6
	v_mul_hi_u32 v11, v6, s11
	v_add_u32_e32 v12, -1, v9
	v_add_u32_e32 v13, 1, v9
	v_fma_f32 v14, -v12, v9, v7
	v_fma_f32 v15, -v13, v9, v7
	v_cmp_ge_f32_e64 s[2:3], 0, v14
	v_cndmask_b32_e64 v9, v9, v12, s[2:3]
	v_cmp_lt_f32_e64 s[2:3], 0, v15
	v_lshrrev_b32_e32 v11, 15, v11
	v_cndmask_b32_e64 v9, v9, v13, s[2:3]
	v_mul_u32_u24_e32 v13, 0xadc8, v11
	v_add_u32_e32 v10, -1, v6
	v_sub_u32_e32 v6, v6, v13
	v_mul_f32_e32 v12, 0x37800000, v9
	v_mul_lo_u32 v6, v6, s12
	v_cndmask_b32_e32 v9, v9, v12, vcc
	v_cmp_class_f32_e32 vcc, v7, v2
	v_cndmask_b32_e32 v7, v9, v7, vcc
	v_mul_u32_u24_e32 v11, 0xd47, v11
	v_cmp_nge_f32_e32 vcc, 1.0, v7
	v_xor_b32_e32 v12, 0x7fffffff, v11
	v_sub_u32_e32 v13, 0, v11
	v_cndmask_b32_e32 v5, v8, v5, vcc
	v_cmp_lt_u32_e32 vcc, v6, v11
	v_cndmask_b32_e32 v8, v13, v12, vcc
	v_add_u32_e32 v6, v8, v6
	v_add_u32_e32 v8, -1, v6
	v_cvt_f32_u32_e32 v8, v8
	v_cvt_f32_u32_e32 v10, v10
	v_add_f32_e32 v7, 1.0, v5
	v_fma_f32 v8, v8, s13, 0
	v_fma_f32 v10, v10, s13, 0
	v_mul_f32_e32 v8, v8, v8
	v_fmac_f32_e32 v8, v10, v10
	v_mul_f32_e32 v9, 0x4f800000, v8
	v_cmp_gt_f32_e32 vcc, s16, v8
	v_cndmask_b32_e32 v8, v8, v9, vcc
	v_sqrt_f32_e32 v9, v8
	v_add_u32_e32 v10, -1, v9
	v_add_u32_e32 v11, 1, v9
	v_fma_f32 v12, -v10, v9, v8
	v_fma_f32 v13, -v11, v9, v8
	v_cmp_ge_f32_e64 s[2:3], 0, v12
	v_cndmask_b32_e64 v9, v9, v10, s[2:3]
	v_cmp_lt_f32_e64 s[2:3], 0, v13
	v_cndmask_b32_e64 v9, v9, v11, s[2:3]
	v_mul_f32_e32 v10, 0x37800000, v9
	v_cndmask_b32_e32 v9, v9, v10, vcc
	v_cmp_class_f32_e32 vcc, v8, v2
	v_cndmask_b32_e32 v8, v9, v8, vcc
	v_cmp_nge_f32_e32 vcc, 1.0, v8
	v_cndmask_b32_e32 v5, v7, v5, vcc
	s_cbranch_scc1 .LBB31_419
; %bb.420:
	v_mul_f32_e32 v2, 4.0, v5
	s_mov_b32 s10, 0x461c4000
	v_div_scale_f32 v5, s[2:3], s10, s10, v2
	v_div_scale_f32 v6, vcc, v2, s10, v2
	v_rcp_f32_e32 v7, v5
	v_fma_f32 v8, -v5, v7, 1.0
	v_fmac_f32_e32 v7, v8, v7
	v_mul_f32_e32 v8, v6, v7
	v_fma_f32 v9, -v5, v8, v6
	v_fmac_f32_e32 v8, v9, v7
	v_fma_f32 v5, -v5, v8, v6
	v_div_fmas_f32 v5, v5, v7, v8
	v_div_fixup_f32 v2, v5, s10, v2
.LBB31_421:
	s_or_b64 exec, exec, s[8:9]
	v_or_b32_e32 v5, 0x200, v0
	v_cmp_gt_u32_e64 s[2:3], s15, v5
	s_and_saveexec_b64 s[10:11], s[2:3]
	s_cbranch_execz .LBB31_425
; %bb.422:
	v_add_u32_e32 v3, s14, v5
	v_lshlrev_b32_e32 v5, 12, v3
	s_mov_b32 s8, 0x7ed55d16
	v_add3_u32 v3, v3, v5, s8
	v_lshrrev_b32_e32 v5, 19, v3
	v_xor_b32_e32 v3, v3, v5
	v_xor_b32_e32 v3, 0xc761c23c, v3
	v_lshl_add_u32 v3, v3, 5, v3
	v_mov_b32_e32 v6, 0xaccf6200
	v_add_u32_e32 v5, 0xe9f8cc1d, v3
	v_lshl_add_u32 v3, v3, 9, v6
	v_xor_b32_e32 v3, v5, v3
	v_lshlrev_b32_e32 v5, 3, v3
	s_mov_b32 s8, 0xfd7046c5
	v_add3_u32 v3, v3, v5, s8
	v_xor_b32_sdwa v3, v3, v3 dst_sel:DWORD dst_unused:UNUSED_PAD src0_sel:DWORD src1_sel:WORD_1
	v_xor_b32_e32 v3, 0xb55a4f09, v3
	v_mul_hi_u32 v5, v3, 3
	s_brev_b32 s8, -2
	s_movk_i32 s12, 0x2710
	s_mov_b32 s13, 0xbc8f1391
	v_sub_u32_e32 v6, v3, v5
	v_lshrrev_b32_e32 v6, 1, v6
	v_add_u32_e32 v5, v6, v5
	v_lshrrev_b32_e32 v5, 30, v5
	v_mul_lo_u32 v6, v5, s8
	v_mov_b32_e32 v5, 0
	s_mov_b32 s16, 0xbc8f
	s_brev_b32 s17, 12
	v_sub_u32_e32 v3, v3, v6
	v_max_u32_e32 v6, 1, v3
	s_mov_b32 s18, 0xf800000
	v_mov_b32_e32 v3, 0x260
.LBB31_423:                             ; =>This Inner Loop Header: Depth=1
	v_mul_hi_u32 v7, v6, s13
	v_add_f32_e32 v8, 1.0, v5
	s_add_i32 s12, s12, -2
	s_cmp_lg_u32 s12, 0
	v_lshrrev_b32_e32 v7, 15, v7
	v_mul_u32_u24_e32 v9, 0xadc8, v7
	v_sub_u32_e32 v6, v6, v9
	v_mul_lo_u32 v6, v6, s16
	v_mul_u32_u24_e32 v7, 0xd47, v7
	v_xor_b32_e32 v9, 0x7fffffff, v7
	v_sub_u32_e32 v10, 0, v7
	v_cmp_lt_u32_e32 vcc, v6, v7
	v_cndmask_b32_e32 v7, v10, v9, vcc
	v_add_u32_e32 v6, v7, v6
	v_mul_hi_u32 v9, v6, s13
	v_add_u32_e32 v7, -1, v6
	v_cvt_f32_u32_e32 v7, v7
	v_lshrrev_b32_e32 v9, 15, v9
	v_mul_u32_u24_e32 v10, 0xadc8, v9
	v_sub_u32_e32 v6, v6, v10
	v_mul_lo_u32 v6, v6, s16
	v_mul_u32_u24_e32 v9, 0xd47, v9
	v_xor_b32_e32 v10, 0x7fffffff, v9
	v_sub_u32_e32 v11, 0, v9
	v_cmp_lt_u32_e32 vcc, v6, v9
	v_cndmask_b32_e32 v9, v11, v10, vcc
	v_add_u32_e32 v6, v9, v6
	v_mul_hi_u32 v10, v6, s13
	v_add_u32_e32 v9, -1, v6
	v_cvt_f32_u32_e32 v9, v9
	v_fma_f32 v7, v7, s17, 0
	v_lshrrev_b32_e32 v10, 15, v10
	v_mul_u32_u24_e32 v11, 0xadc8, v10
	v_fma_f32 v9, v9, s17, 0
	v_sub_u32_e32 v6, v6, v11
	v_mul_f32_e32 v9, v9, v9
	v_mul_lo_u32 v6, v6, s16
	v_fmac_f32_e32 v9, v7, v7
	v_mul_f32_e32 v7, 0x4f800000, v9
	v_cmp_gt_f32_e32 vcc, s18, v9
	v_mul_u32_u24_e32 v10, 0xd47, v10
	v_cndmask_b32_e32 v7, v9, v7, vcc
	v_xor_b32_e32 v11, 0x7fffffff, v10
	v_sub_u32_e32 v12, 0, v10
	v_sqrt_f32_e32 v9, v7
	v_cmp_lt_u32_e64 s[8:9], v6, v10
	v_cndmask_b32_e64 v10, v12, v11, s[8:9]
	v_add_u32_e32 v6, v10, v6
	v_mul_hi_u32 v11, v6, s13
	v_add_u32_e32 v12, -1, v9
	v_add_u32_e32 v13, 1, v9
	v_fma_f32 v14, -v12, v9, v7
	v_fma_f32 v15, -v13, v9, v7
	v_cmp_ge_f32_e64 s[8:9], 0, v14
	v_cndmask_b32_e64 v9, v9, v12, s[8:9]
	v_cmp_lt_f32_e64 s[8:9], 0, v15
	v_lshrrev_b32_e32 v11, 15, v11
	v_cndmask_b32_e64 v9, v9, v13, s[8:9]
	v_mul_u32_u24_e32 v13, 0xadc8, v11
	v_add_u32_e32 v10, -1, v6
	v_sub_u32_e32 v6, v6, v13
	v_mul_f32_e32 v12, 0x37800000, v9
	v_mul_lo_u32 v6, v6, s16
	v_cndmask_b32_e32 v9, v9, v12, vcc
	v_cmp_class_f32_e32 vcc, v7, v3
	v_cndmask_b32_e32 v7, v9, v7, vcc
	v_mul_u32_u24_e32 v11, 0xd47, v11
	v_cmp_nge_f32_e32 vcc, 1.0, v7
	v_xor_b32_e32 v12, 0x7fffffff, v11
	v_sub_u32_e32 v13, 0, v11
	v_cndmask_b32_e32 v5, v8, v5, vcc
	v_cmp_lt_u32_e32 vcc, v6, v11
	v_cndmask_b32_e32 v8, v13, v12, vcc
	v_add_u32_e32 v6, v8, v6
	v_add_u32_e32 v8, -1, v6
	v_cvt_f32_u32_e32 v8, v8
	v_cvt_f32_u32_e32 v10, v10
	v_add_f32_e32 v7, 1.0, v5
	v_fma_f32 v8, v8, s17, 0
	v_fma_f32 v10, v10, s17, 0
	v_mul_f32_e32 v8, v8, v8
	v_fmac_f32_e32 v8, v10, v10
	v_mul_f32_e32 v9, 0x4f800000, v8
	v_cmp_gt_f32_e32 vcc, s18, v8
	v_cndmask_b32_e32 v8, v8, v9, vcc
	v_sqrt_f32_e32 v9, v8
	v_add_u32_e32 v10, -1, v9
	v_add_u32_e32 v11, 1, v9
	v_fma_f32 v12, -v10, v9, v8
	v_fma_f32 v13, -v11, v9, v8
	v_cmp_ge_f32_e64 s[8:9], 0, v12
	v_cndmask_b32_e64 v9, v9, v10, s[8:9]
	v_cmp_lt_f32_e64 s[8:9], 0, v13
	v_cndmask_b32_e64 v9, v9, v11, s[8:9]
	v_mul_f32_e32 v10, 0x37800000, v9
	v_cndmask_b32_e32 v9, v9, v10, vcc
	v_cmp_class_f32_e32 vcc, v8, v3
	v_cndmask_b32_e32 v8, v9, v8, vcc
	v_cmp_nge_f32_e32 vcc, 1.0, v8
	v_cndmask_b32_e32 v5, v7, v5, vcc
	s_cbranch_scc1 .LBB31_423
; %bb.424:
	v_mul_f32_e32 v3, 4.0, v5
	s_mov_b32 s12, 0x461c4000
	v_div_scale_f32 v5, s[8:9], s12, s12, v3
	v_div_scale_f32 v6, vcc, v3, s12, v3
	v_rcp_f32_e32 v7, v5
	v_fma_f32 v8, -v5, v7, 1.0
	v_fmac_f32_e32 v7, v8, v7
	v_mul_f32_e32 v8, v6, v7
	v_fma_f32 v9, -v5, v8, v6
	v_fmac_f32_e32 v8, v9, v7
	v_fma_f32 v5, -v5, v8, v6
	v_div_fmas_f32 v5, v5, v7, v8
	v_div_fixup_f32 v3, v5, s12, v3
.LBB31_425:
	s_or_b64 exec, exec, s[10:11]
	v_or_b32_e32 v5, 0x300, v0
	v_cmp_gt_u32_e64 s[8:9], s15, v5
	s_and_saveexec_b64 s[12:13], s[8:9]
	s_cbranch_execz .LBB31_429
; %bb.426:
	v_add_u32_e32 v4, s14, v5
	v_lshlrev_b32_e32 v5, 12, v4
	s_mov_b32 s10, 0x7ed55d16
	v_add3_u32 v4, v4, v5, s10
	v_lshrrev_b32_e32 v5, 19, v4
	v_xor_b32_e32 v4, v4, v5
	v_xor_b32_e32 v4, 0xc761c23c, v4
	v_lshl_add_u32 v4, v4, 5, v4
	v_mov_b32_e32 v6, 0xaccf6200
	v_add_u32_e32 v5, 0xe9f8cc1d, v4
	v_lshl_add_u32 v4, v4, 9, v6
	v_xor_b32_e32 v4, v5, v4
	v_lshlrev_b32_e32 v5, 3, v4
	s_mov_b32 s10, 0xfd7046c5
	v_add3_u32 v4, v4, v5, s10
	v_xor_b32_sdwa v4, v4, v4 dst_sel:DWORD dst_unused:UNUSED_PAD src0_sel:DWORD src1_sel:WORD_1
	v_xor_b32_e32 v4, 0xb55a4f09, v4
	v_mul_hi_u32 v5, v4, 3
	s_brev_b32 s10, -2
	s_movk_i32 s14, 0x2710
	s_mov_b32 s16, 0xbc8f1391
	v_sub_u32_e32 v6, v4, v5
	v_lshrrev_b32_e32 v6, 1, v6
	v_add_u32_e32 v5, v6, v5
	v_lshrrev_b32_e32 v5, 30, v5
	v_mul_lo_u32 v6, v5, s10
	v_mov_b32_e32 v5, 0
	s_mov_b32 s17, 0xbc8f
	s_brev_b32 s18, 12
	v_sub_u32_e32 v4, v4, v6
	v_max_u32_e32 v6, 1, v4
	s_mov_b32 s19, 0xf800000
	v_mov_b32_e32 v4, 0x260
.LBB31_427:                             ; =>This Inner Loop Header: Depth=1
	v_mul_hi_u32 v7, v6, s16
	v_add_f32_e32 v8, 1.0, v5
	s_add_i32 s14, s14, -2
	s_cmp_lg_u32 s14, 0
	v_lshrrev_b32_e32 v7, 15, v7
	v_mul_u32_u24_e32 v9, 0xadc8, v7
	v_sub_u32_e32 v6, v6, v9
	v_mul_lo_u32 v6, v6, s17
	v_mul_u32_u24_e32 v7, 0xd47, v7
	v_xor_b32_e32 v9, 0x7fffffff, v7
	v_sub_u32_e32 v10, 0, v7
	v_cmp_lt_u32_e32 vcc, v6, v7
	v_cndmask_b32_e32 v7, v10, v9, vcc
	v_add_u32_e32 v6, v7, v6
	v_mul_hi_u32 v9, v6, s16
	v_add_u32_e32 v7, -1, v6
	v_cvt_f32_u32_e32 v7, v7
	v_lshrrev_b32_e32 v9, 15, v9
	v_mul_u32_u24_e32 v10, 0xadc8, v9
	v_sub_u32_e32 v6, v6, v10
	v_mul_lo_u32 v6, v6, s17
	v_mul_u32_u24_e32 v9, 0xd47, v9
	v_xor_b32_e32 v10, 0x7fffffff, v9
	v_sub_u32_e32 v11, 0, v9
	v_cmp_lt_u32_e32 vcc, v6, v9
	v_cndmask_b32_e32 v9, v11, v10, vcc
	v_add_u32_e32 v6, v9, v6
	v_mul_hi_u32 v10, v6, s16
	v_add_u32_e32 v9, -1, v6
	v_cvt_f32_u32_e32 v9, v9
	v_fma_f32 v7, v7, s18, 0
	v_lshrrev_b32_e32 v10, 15, v10
	v_mul_u32_u24_e32 v11, 0xadc8, v10
	v_fma_f32 v9, v9, s18, 0
	v_sub_u32_e32 v6, v6, v11
	v_mul_f32_e32 v9, v9, v9
	v_mul_lo_u32 v6, v6, s17
	v_fmac_f32_e32 v9, v7, v7
	v_mul_f32_e32 v7, 0x4f800000, v9
	v_cmp_gt_f32_e32 vcc, s19, v9
	v_mul_u32_u24_e32 v10, 0xd47, v10
	v_cndmask_b32_e32 v7, v9, v7, vcc
	v_xor_b32_e32 v11, 0x7fffffff, v10
	v_sub_u32_e32 v12, 0, v10
	v_sqrt_f32_e32 v9, v7
	v_cmp_lt_u32_e64 s[10:11], v6, v10
	v_cndmask_b32_e64 v10, v12, v11, s[10:11]
	v_add_u32_e32 v6, v10, v6
	v_mul_hi_u32 v11, v6, s16
	v_add_u32_e32 v12, -1, v9
	v_add_u32_e32 v13, 1, v9
	v_fma_f32 v14, -v12, v9, v7
	v_fma_f32 v15, -v13, v9, v7
	v_cmp_ge_f32_e64 s[10:11], 0, v14
	v_cndmask_b32_e64 v9, v9, v12, s[10:11]
	v_cmp_lt_f32_e64 s[10:11], 0, v15
	v_lshrrev_b32_e32 v11, 15, v11
	v_cndmask_b32_e64 v9, v9, v13, s[10:11]
	v_mul_u32_u24_e32 v13, 0xadc8, v11
	v_add_u32_e32 v10, -1, v6
	v_sub_u32_e32 v6, v6, v13
	v_mul_f32_e32 v12, 0x37800000, v9
	v_mul_lo_u32 v6, v6, s17
	v_cndmask_b32_e32 v9, v9, v12, vcc
	v_cmp_class_f32_e32 vcc, v7, v4
	v_cndmask_b32_e32 v7, v9, v7, vcc
	v_mul_u32_u24_e32 v11, 0xd47, v11
	v_cmp_nge_f32_e32 vcc, 1.0, v7
	v_xor_b32_e32 v12, 0x7fffffff, v11
	v_sub_u32_e32 v13, 0, v11
	v_cndmask_b32_e32 v5, v8, v5, vcc
	v_cmp_lt_u32_e32 vcc, v6, v11
	v_cndmask_b32_e32 v8, v13, v12, vcc
	v_add_u32_e32 v6, v8, v6
	v_add_u32_e32 v8, -1, v6
	v_cvt_f32_u32_e32 v8, v8
	v_cvt_f32_u32_e32 v10, v10
	v_add_f32_e32 v7, 1.0, v5
	v_fma_f32 v8, v8, s18, 0
	v_fma_f32 v10, v10, s18, 0
	v_mul_f32_e32 v8, v8, v8
	v_fmac_f32_e32 v8, v10, v10
	v_mul_f32_e32 v9, 0x4f800000, v8
	v_cmp_gt_f32_e32 vcc, s19, v8
	v_cndmask_b32_e32 v8, v8, v9, vcc
	v_sqrt_f32_e32 v9, v8
	v_add_u32_e32 v10, -1, v9
	v_add_u32_e32 v11, 1, v9
	v_fma_f32 v12, -v10, v9, v8
	v_fma_f32 v13, -v11, v9, v8
	v_cmp_ge_f32_e64 s[10:11], 0, v12
	v_cndmask_b32_e64 v9, v9, v10, s[10:11]
	v_cmp_lt_f32_e64 s[10:11], 0, v13
	v_cndmask_b32_e64 v9, v9, v11, s[10:11]
	v_mul_f32_e32 v10, 0x37800000, v9
	v_cndmask_b32_e32 v9, v9, v10, vcc
	v_cmp_class_f32_e32 vcc, v8, v4
	v_cndmask_b32_e32 v8, v9, v8, vcc
	v_cmp_nge_f32_e32 vcc, 1.0, v8
	v_cndmask_b32_e32 v5, v7, v5, vcc
	s_cbranch_scc1 .LBB31_427
; %bb.428:
	v_mul_f32_e32 v4, 4.0, v5
	s_mov_b32 s14, 0x461c4000
	v_div_scale_f32 v5, s[10:11], s14, s14, v4
	v_div_scale_f32 v6, vcc, v4, s14, v4
	v_rcp_f32_e32 v7, v5
	v_fma_f32 v8, -v5, v7, 1.0
	v_fmac_f32_e32 v7, v8, v7
	v_mul_f32_e32 v8, v6, v7
	v_fma_f32 v9, -v5, v8, v6
	v_fmac_f32_e32 v8, v9, v7
	v_fma_f32 v5, -v5, v8, v6
	v_div_fmas_f32 v5, v5, v7, v8
	v_div_fixup_f32 v4, v5, s14, v4
.LBB31_429:
	s_or_b64 exec, exec, s[12:13]
	v_add_f32_e32 v2, v1, v2
	v_cndmask_b32_e64 v1, v1, v2, s[0:1]
	v_add_f32_e32 v2, v3, v1
	v_cndmask_b32_e64 v1, v1, v2, s[2:3]
	;; [unrolled: 2-line block ×3, first 2 shown]
	v_mbcnt_lo_u32_b32 v2, -1, 0
	v_mbcnt_hi_u32_b32 v2, -1, v2
	v_and_b32_e32 v4, 63, v2
	v_cmp_ne_u32_e32 vcc, 63, v4
	v_addc_co_u32_e32 v3, vcc, 0, v2, vcc
	v_lshlrev_b32_e32 v3, 2, v3
	ds_bpermute_b32 v3, v3, v1
	s_min_u32 s8, s15, 0x100
	v_and_b32_e32 v5, 0xc0, v0
	v_sub_u32_e64 v5, s8, v5 clamp
	v_add_u32_e32 v6, 1, v4
	v_cmp_gt_u32_e64 s[0:1], 62, v4
	s_waitcnt lgkmcnt(0)
	v_add_f32_e32 v3, v1, v3
	v_cmp_lt_u32_e32 vcc, v6, v5
	v_cndmask_b32_e64 v6, 0, 2, s[0:1]
	v_cndmask_b32_e32 v3, v1, v3, vcc
	v_add_lshl_u32 v6, v6, v2, 2
	ds_bpermute_b32 v6, v6, v3
	v_add_u32_e32 v7, 2, v4
	v_cmp_lt_u32_e64 s[0:1], v7, v5
	v_add_u32_e32 v7, 4, v4
	s_waitcnt lgkmcnt(0)
	v_add_f32_e32 v6, v3, v6
	v_cndmask_b32_e64 v3, v3, v6, s[0:1]
	v_cmp_gt_u32_e64 s[0:1], 60, v4
	v_cndmask_b32_e64 v6, 0, 4, s[0:1]
	v_add_lshl_u32 v6, v6, v2, 2
	ds_bpermute_b32 v6, v6, v3
	v_cmp_lt_u32_e64 s[0:1], v7, v5
	v_add_u32_e32 v7, 8, v4
	s_waitcnt lgkmcnt(0)
	v_add_f32_e32 v6, v3, v6
	v_cndmask_b32_e64 v3, v3, v6, s[0:1]
	v_cmp_gt_u32_e64 s[0:1], 56, v4
	v_cndmask_b32_e64 v6, 0, 8, s[0:1]
	v_add_lshl_u32 v6, v6, v2, 2
	ds_bpermute_b32 v6, v6, v3
	;; [unrolled: 9-line block ×3, first 2 shown]
	v_cmp_lt_u32_e64 s[0:1], v7, v5
	v_add_u32_e32 v4, 32, v4
	s_waitcnt lgkmcnt(0)
	v_add_f32_e32 v6, v3, v6
	v_cndmask_b32_e64 v6, v3, v6, s[0:1]
	v_lshlrev_b32_e32 v3, 2, v2
	v_or_b32_e32 v7, 0x80, v3
	ds_bpermute_b32 v7, v7, v6
	v_cmp_lt_u32_e64 s[0:1], v4, v5
	s_waitcnt lgkmcnt(0)
	v_add_f32_e32 v7, v6, v7
	v_cndmask_b32_e64 v4, v6, v7, s[0:1]
	v_cndmask_b32_e32 v1, v1, v4, vcc
	v_cmp_eq_u32_e32 vcc, 0, v2
	s_and_saveexec_b64 s[0:1], vcc
; %bb.430:
	v_lshrrev_b32_e32 v4, 4, v0
	v_and_b32_e32 v4, 12, v4
	ds_write_b32 v4, v1 offset:96
; %bb.431:
	s_or_b64 exec, exec, s[0:1]
	v_cmp_gt_u32_e32 vcc, 4, v0
	s_waitcnt lgkmcnt(0)
	s_barrier
	s_and_saveexec_b64 s[2:3], vcc
	s_cbranch_execz .LBB31_433
; %bb.432:
	ds_read_b32 v1, v3 offset:96
	v_and_b32_e32 v4, 3, v2
	v_cmp_ne_u32_e32 vcc, 3, v4
	v_addc_co_u32_e32 v2, vcc, 0, v2, vcc
	v_lshlrev_b32_e32 v2, 2, v2
	s_waitcnt lgkmcnt(0)
	ds_bpermute_b32 v2, v2, v1
	s_add_i32 s8, s8, 63
	s_lshr_b32 s0, s8, 6
	v_add_u32_e32 v5, 1, v4
	v_cmp_gt_u32_e32 vcc, s0, v5
	s_waitcnt lgkmcnt(0)
	v_add_f32_e32 v2, v1, v2
	v_cndmask_b32_e32 v2, v1, v2, vcc
	v_or_b32_e32 v3, 8, v3
	ds_bpermute_b32 v3, v3, v2
	v_add_u32_e32 v4, 2, v4
	v_cmp_gt_u32_e64 s[0:1], s0, v4
	s_waitcnt lgkmcnt(0)
	v_add_f32_e32 v3, v2, v3
	v_cndmask_b32_e64 v2, v2, v3, s[0:1]
	v_cndmask_b32_e32 v1, v1, v2, vcc
.LBB31_433:
	s_or_b64 exec, exec, s[2:3]
.LBB31_434:
	v_cmp_eq_u32_e64 s[0:1], 0, v0
	s_branch .LBB31_410
.LBB31_435:
	s_cmp_eq_u32 s70, 2
	s_cbranch_scc0 .LBB31_446
; %bb.436:
	s_lshl_b32 s2, s6, 9
	s_mov_b32 s7, 0
	s_lshr_b64 s[0:1], s[72:73], 9
	s_add_i32 s10, s71, s2
	s_cmp_lg_u64 s[0:1], s[6:7]
	s_cbranch_scc0 .LBB31_447
; %bb.437:
	v_add_u32_e32 v2, s10, v0
	v_lshlrev_b32_e32 v1, 12, v2
	s_mov_b32 s0, 0x7ed55d16
	v_add3_u32 v1, v2, v1, s0
	v_lshrrev_b32_e32 v3, 19, v1
	v_xor_b32_e32 v1, v1, v3
	v_xor_b32_e32 v1, 0xc761c23c, v1
	v_lshl_add_u32 v1, v1, 5, v1
	v_mov_b32_e32 v4, 0xaccf6200
	v_add_u32_e32 v3, 0xe9f8cc1d, v1
	v_lshl_add_u32 v1, v1, 9, v4
	v_xor_b32_e32 v1, v3, v1
	v_lshlrev_b32_e32 v3, 3, v1
	s_mov_b32 s0, 0xfd7046c5
	v_add3_u32 v1, v1, v3, s0
	v_xor_b32_sdwa v1, v1, v1 dst_sel:DWORD dst_unused:UNUSED_PAD src0_sel:DWORD src1_sel:WORD_1
	v_xor_b32_e32 v3, 0xb55a4f09, v1
	v_mul_hi_u32 v1, v3, 3
	s_brev_b32 s0, -2
	s_movk_i32 s3, 0x2710
	s_mov_b32 s8, 0xbc8f1391
	v_sub_u32_e32 v4, v3, v1
	v_lshrrev_b32_e32 v4, 1, v4
	v_add_u32_e32 v1, v4, v1
	v_lshrrev_b32_e32 v1, 30, v1
	v_mul_lo_u32 v4, v1, s0
	v_mov_b32_e32 v1, 0
	s_mov_b32 s9, 0xbc8f
	s_brev_b32 s11, 12
	v_sub_u32_e32 v3, v3, v4
	v_max_u32_e32 v4, 1, v3
	s_mov_b32 s12, 0xf800000
	v_mov_b32_e32 v3, 0x260
.LBB31_438:                             ; =>This Inner Loop Header: Depth=1
	v_mul_hi_u32 v5, v4, s8
	v_add_f32_e32 v6, 1.0, v1
	s_add_i32 s3, s3, -2
	s_cmp_lg_u32 s3, 0
	v_lshrrev_b32_e32 v5, 15, v5
	v_mul_u32_u24_e32 v7, 0xadc8, v5
	v_sub_u32_e32 v4, v4, v7
	v_mul_lo_u32 v4, v4, s9
	v_mul_u32_u24_e32 v5, 0xd47, v5
	v_xor_b32_e32 v7, 0x7fffffff, v5
	v_sub_u32_e32 v8, 0, v5
	v_cmp_lt_u32_e32 vcc, v4, v5
	v_cndmask_b32_e32 v5, v8, v7, vcc
	v_add_u32_e32 v4, v5, v4
	v_mul_hi_u32 v7, v4, s8
	v_add_u32_e32 v5, -1, v4
	v_cvt_f32_u32_e32 v5, v5
	v_lshrrev_b32_e32 v7, 15, v7
	v_mul_u32_u24_e32 v8, 0xadc8, v7
	v_sub_u32_e32 v4, v4, v8
	v_mul_lo_u32 v4, v4, s9
	v_mul_u32_u24_e32 v7, 0xd47, v7
	v_xor_b32_e32 v8, 0x7fffffff, v7
	v_sub_u32_e32 v9, 0, v7
	v_cmp_lt_u32_e32 vcc, v4, v7
	v_cndmask_b32_e32 v7, v9, v8, vcc
	v_add_u32_e32 v4, v7, v4
	v_mul_hi_u32 v8, v4, s8
	v_add_u32_e32 v7, -1, v4
	v_cvt_f32_u32_e32 v7, v7
	v_fma_f32 v5, v5, s11, 0
	v_lshrrev_b32_e32 v8, 15, v8
	v_mul_u32_u24_e32 v9, 0xadc8, v8
	v_fma_f32 v7, v7, s11, 0
	v_sub_u32_e32 v4, v4, v9
	v_mul_f32_e32 v7, v7, v7
	v_mul_lo_u32 v4, v4, s9
	v_fmac_f32_e32 v7, v5, v5
	v_mul_f32_e32 v5, 0x4f800000, v7
	v_cmp_gt_f32_e32 vcc, s12, v7
	v_mul_u32_u24_e32 v8, 0xd47, v8
	v_cndmask_b32_e32 v5, v7, v5, vcc
	v_xor_b32_e32 v9, 0x7fffffff, v8
	v_sub_u32_e32 v10, 0, v8
	v_sqrt_f32_e32 v7, v5
	v_cmp_lt_u32_e64 s[0:1], v4, v8
	v_cndmask_b32_e64 v8, v10, v9, s[0:1]
	v_add_u32_e32 v4, v8, v4
	v_mul_hi_u32 v9, v4, s8
	v_add_u32_e32 v10, -1, v7
	v_add_u32_e32 v11, 1, v7
	v_fma_f32 v12, -v10, v7, v5
	v_fma_f32 v13, -v11, v7, v5
	v_cmp_ge_f32_e64 s[0:1], 0, v12
	v_cndmask_b32_e64 v7, v7, v10, s[0:1]
	v_cmp_lt_f32_e64 s[0:1], 0, v13
	v_lshrrev_b32_e32 v9, 15, v9
	v_cndmask_b32_e64 v7, v7, v11, s[0:1]
	v_mul_u32_u24_e32 v11, 0xadc8, v9
	v_add_u32_e32 v8, -1, v4
	v_sub_u32_e32 v4, v4, v11
	v_mul_f32_e32 v10, 0x37800000, v7
	v_mul_lo_u32 v4, v4, s9
	v_cndmask_b32_e32 v7, v7, v10, vcc
	v_cmp_class_f32_e32 vcc, v5, v3
	v_cndmask_b32_e32 v5, v7, v5, vcc
	v_mul_u32_u24_e32 v9, 0xd47, v9
	v_cmp_nge_f32_e32 vcc, 1.0, v5
	v_xor_b32_e32 v10, 0x7fffffff, v9
	v_sub_u32_e32 v11, 0, v9
	v_cndmask_b32_e32 v1, v6, v1, vcc
	v_cmp_lt_u32_e32 vcc, v4, v9
	v_cndmask_b32_e32 v6, v11, v10, vcc
	v_add_u32_e32 v4, v6, v4
	v_add_u32_e32 v6, -1, v4
	v_cvt_f32_u32_e32 v6, v6
	v_cvt_f32_u32_e32 v8, v8
	v_add_f32_e32 v5, 1.0, v1
	v_fma_f32 v6, v6, s11, 0
	v_fma_f32 v8, v8, s11, 0
	v_mul_f32_e32 v6, v6, v6
	v_fmac_f32_e32 v6, v8, v8
	v_mul_f32_e32 v7, 0x4f800000, v6
	v_cmp_gt_f32_e32 vcc, s12, v6
	v_cndmask_b32_e32 v6, v6, v7, vcc
	v_sqrt_f32_e32 v7, v6
	v_add_u32_e32 v8, -1, v7
	v_add_u32_e32 v9, 1, v7
	v_fma_f32 v10, -v8, v7, v6
	v_fma_f32 v11, -v9, v7, v6
	v_cmp_ge_f32_e64 s[0:1], 0, v10
	v_cndmask_b32_e64 v7, v7, v8, s[0:1]
	v_cmp_lt_f32_e64 s[0:1], 0, v11
	v_cndmask_b32_e64 v7, v7, v9, s[0:1]
	v_mul_f32_e32 v8, 0x37800000, v7
	v_cndmask_b32_e32 v7, v7, v8, vcc
	v_cmp_class_f32_e32 vcc, v6, v3
	v_cndmask_b32_e32 v6, v7, v6, vcc
	v_cmp_nge_f32_e32 vcc, 1.0, v6
	v_cndmask_b32_e32 v1, v5, v1, vcc
	s_cbranch_scc1 .LBB31_438
; %bb.439:
	v_lshl_add_u32 v2, v2, 12, v2
	v_add_u32_e32 v2, 0x7ee55e16, v2
	v_lshrrev_b32_e32 v3, 19, v2
	v_xor_b32_e32 v2, v2, v3
	v_xor_b32_e32 v2, 0xc761c23c, v2
	v_lshl_add_u32 v2, v2, 5, v2
	v_mov_b32_e32 v4, 0xaccf6200
	v_add_u32_e32 v3, 0xe9f8cc1d, v2
	v_lshl_add_u32 v2, v2, 9, v4
	v_xor_b32_e32 v2, v3, v2
	v_lshlrev_b32_e32 v3, 3, v2
	s_mov_b32 s0, 0xfd7046c5
	v_add3_u32 v2, v2, v3, s0
	v_xor_b32_sdwa v2, v2, v2 dst_sel:DWORD dst_unused:UNUSED_PAD src0_sel:DWORD src1_sel:WORD_1
	v_xor_b32_e32 v2, 0xb55a4f09, v2
	v_mul_hi_u32 v3, v2, 3
	s_brev_b32 s0, -2
	s_movk_i32 s3, 0x2710
	s_mov_b32 s8, 0xbc8f1391
	v_sub_u32_e32 v4, v2, v3
	v_lshrrev_b32_e32 v4, 1, v4
	v_add_u32_e32 v3, v4, v3
	v_lshrrev_b32_e32 v3, 30, v3
	v_mul_lo_u32 v4, v3, s0
	v_mov_b32_e32 v3, 0
	s_mov_b32 s9, 0xbc8f
	s_brev_b32 s11, 12
	v_sub_u32_e32 v2, v2, v4
	v_max_u32_e32 v4, 1, v2
	s_mov_b32 s12, 0xf800000
	v_mov_b32_e32 v2, 0x260
.LBB31_440:                             ; =>This Inner Loop Header: Depth=1
	v_mul_hi_u32 v5, v4, s8
	v_add_f32_e32 v6, 1.0, v3
	s_add_i32 s3, s3, -2
	s_cmp_lg_u32 s3, 0
	v_lshrrev_b32_e32 v5, 15, v5
	v_mul_u32_u24_e32 v7, 0xadc8, v5
	v_sub_u32_e32 v4, v4, v7
	v_mul_lo_u32 v4, v4, s9
	v_mul_u32_u24_e32 v5, 0xd47, v5
	v_xor_b32_e32 v7, 0x7fffffff, v5
	v_sub_u32_e32 v8, 0, v5
	v_cmp_lt_u32_e32 vcc, v4, v5
	v_cndmask_b32_e32 v5, v8, v7, vcc
	v_add_u32_e32 v4, v5, v4
	v_mul_hi_u32 v7, v4, s8
	v_add_u32_e32 v5, -1, v4
	v_cvt_f32_u32_e32 v5, v5
	v_lshrrev_b32_e32 v7, 15, v7
	v_mul_u32_u24_e32 v8, 0xadc8, v7
	v_sub_u32_e32 v4, v4, v8
	v_mul_lo_u32 v4, v4, s9
	v_mul_u32_u24_e32 v7, 0xd47, v7
	v_xor_b32_e32 v8, 0x7fffffff, v7
	v_sub_u32_e32 v9, 0, v7
	v_cmp_lt_u32_e32 vcc, v4, v7
	v_cndmask_b32_e32 v7, v9, v8, vcc
	v_add_u32_e32 v4, v7, v4
	v_mul_hi_u32 v8, v4, s8
	v_add_u32_e32 v7, -1, v4
	v_cvt_f32_u32_e32 v7, v7
	v_fma_f32 v5, v5, s11, 0
	v_lshrrev_b32_e32 v8, 15, v8
	v_mul_u32_u24_e32 v9, 0xadc8, v8
	v_fma_f32 v7, v7, s11, 0
	v_sub_u32_e32 v4, v4, v9
	v_mul_f32_e32 v7, v7, v7
	v_mul_lo_u32 v4, v4, s9
	v_fmac_f32_e32 v7, v5, v5
	v_mul_f32_e32 v5, 0x4f800000, v7
	v_cmp_gt_f32_e32 vcc, s12, v7
	v_mul_u32_u24_e32 v8, 0xd47, v8
	v_cndmask_b32_e32 v5, v7, v5, vcc
	v_xor_b32_e32 v9, 0x7fffffff, v8
	v_sub_u32_e32 v10, 0, v8
	v_sqrt_f32_e32 v7, v5
	v_cmp_lt_u32_e64 s[0:1], v4, v8
	v_cndmask_b32_e64 v8, v10, v9, s[0:1]
	v_add_u32_e32 v4, v8, v4
	v_mul_hi_u32 v9, v4, s8
	v_add_u32_e32 v10, -1, v7
	v_add_u32_e32 v11, 1, v7
	v_fma_f32 v12, -v10, v7, v5
	v_fma_f32 v13, -v11, v7, v5
	v_cmp_ge_f32_e64 s[0:1], 0, v12
	v_cndmask_b32_e64 v7, v7, v10, s[0:1]
	v_cmp_lt_f32_e64 s[0:1], 0, v13
	v_lshrrev_b32_e32 v9, 15, v9
	v_cndmask_b32_e64 v7, v7, v11, s[0:1]
	v_mul_u32_u24_e32 v11, 0xadc8, v9
	v_add_u32_e32 v8, -1, v4
	v_sub_u32_e32 v4, v4, v11
	v_mul_f32_e32 v10, 0x37800000, v7
	v_mul_lo_u32 v4, v4, s9
	v_cndmask_b32_e32 v7, v7, v10, vcc
	v_cmp_class_f32_e32 vcc, v5, v2
	v_cndmask_b32_e32 v5, v7, v5, vcc
	v_mul_u32_u24_e32 v9, 0xd47, v9
	v_cmp_nge_f32_e32 vcc, 1.0, v5
	v_xor_b32_e32 v10, 0x7fffffff, v9
	v_sub_u32_e32 v11, 0, v9
	v_cndmask_b32_e32 v3, v6, v3, vcc
	v_cmp_lt_u32_e32 vcc, v4, v9
	v_cndmask_b32_e32 v6, v11, v10, vcc
	v_add_u32_e32 v4, v6, v4
	v_add_u32_e32 v6, -1, v4
	v_cvt_f32_u32_e32 v6, v6
	v_cvt_f32_u32_e32 v8, v8
	v_add_f32_e32 v5, 1.0, v3
	v_fma_f32 v6, v6, s11, 0
	v_fma_f32 v8, v8, s11, 0
	v_mul_f32_e32 v6, v6, v6
	v_fmac_f32_e32 v6, v8, v8
	v_mul_f32_e32 v7, 0x4f800000, v6
	v_cmp_gt_f32_e32 vcc, s12, v6
	v_cndmask_b32_e32 v6, v6, v7, vcc
	v_sqrt_f32_e32 v7, v6
	v_add_u32_e32 v8, -1, v7
	v_add_u32_e32 v9, 1, v7
	v_fma_f32 v10, -v8, v7, v6
	v_fma_f32 v11, -v9, v7, v6
	v_cmp_ge_f32_e64 s[0:1], 0, v10
	v_cndmask_b32_e64 v7, v7, v8, s[0:1]
	v_cmp_lt_f32_e64 s[0:1], 0, v11
	v_cndmask_b32_e64 v7, v7, v9, s[0:1]
	v_mul_f32_e32 v8, 0x37800000, v7
	v_cndmask_b32_e32 v7, v7, v8, vcc
	v_cmp_class_f32_e32 vcc, v6, v2
	v_cndmask_b32_e32 v6, v7, v6, vcc
	v_cmp_nge_f32_e32 vcc, 1.0, v6
	v_cndmask_b32_e32 v3, v5, v3, vcc
	s_cbranch_scc1 .LBB31_440
; %bb.441:
	v_mul_f32_e32 v1, 4.0, v1
	s_mov_b32 s3, 0x461c4000
	v_div_scale_f32 v2, s[0:1], s3, s3, v1
	v_mul_f32_e32 v4, 4.0, v3
	v_div_scale_f32 v3, s[0:1], s3, s3, v4
	v_div_scale_f32 v5, vcc, v1, s3, v1
	v_div_scale_f32 v6, s[0:1], v4, s3, v4
	v_rcp_f32_e32 v7, v2
	v_rcp_f32_e32 v8, v3
	v_fma_f32 v9, -v2, v7, 1.0
	v_fmac_f32_e32 v7, v9, v7
	v_mul_f32_e32 v9, v5, v7
	v_fma_f32 v10, -v3, v8, 1.0
	v_fmac_f32_e32 v8, v10, v8
	v_mul_f32_e32 v10, v6, v8
	v_fma_f32 v11, -v2, v9, v5
	v_fma_f32 v12, -v3, v10, v6
	v_fmac_f32_e32 v9, v11, v7
	v_fmac_f32_e32 v10, v12, v8
	v_fma_f32 v2, -v2, v9, v5
	v_fma_f32 v3, -v3, v10, v6
	v_div_fmas_f32 v5, v2, v7, v9
	s_mov_b64 vcc, s[0:1]
	v_div_fmas_f32 v6, v3, v8, v10
	v_mbcnt_lo_u32_b32 v2, -1, 0
	v_mbcnt_hi_u32_b32 v2, -1, v2
	v_lshlrev_b32_e32 v3, 2, v2
	v_cmp_eq_u32_e32 vcc, 0, v2
	v_div_fixup_f32 v1, v5, s3, v1
	v_div_fixup_f32 v4, v6, s3, v4
	v_add_f32_e32 v1, v1, v4
	v_or_b32_e32 v4, 0xfc, v3
	s_nop 0
	v_add_f32_dpp v1, v1, v1 quad_perm:[1,0,3,2] row_mask:0xf bank_mask:0xf bound_ctrl:1
	s_nop 1
	v_add_f32_dpp v1, v1, v1 quad_perm:[2,3,0,1] row_mask:0xf bank_mask:0xf bound_ctrl:1
	s_nop 1
	v_add_f32_dpp v1, v1, v1 row_ror:4 row_mask:0xf bank_mask:0xf bound_ctrl:1
	s_nop 1
	v_add_f32_dpp v1, v1, v1 row_ror:8 row_mask:0xf bank_mask:0xf bound_ctrl:1
	s_nop 1
	v_add_f32_dpp v1, v1, v1 row_bcast:15 row_mask:0xf bank_mask:0xf bound_ctrl:1
	s_nop 1
	v_add_f32_dpp v1, v1, v1 row_bcast:31 row_mask:0xf bank_mask:0xf bound_ctrl:1
	ds_bpermute_b32 v1, v4, v1
	s_and_saveexec_b64 s[0:1], vcc
	s_cbranch_execz .LBB31_443
; %bb.442:
	v_lshrrev_b32_e32 v4, 4, v0
	v_and_b32_e32 v4, 12, v4
	s_waitcnt lgkmcnt(0)
	ds_write_b32 v4, v1 offset:32
.LBB31_443:
	s_or_b64 exec, exec, s[0:1]
	v_cmp_gt_u32_e32 vcc, 64, v0
	s_waitcnt lgkmcnt(0)
	s_barrier
	s_and_saveexec_b64 s[0:1], vcc
	s_cbranch_execz .LBB31_445
; %bb.444:
	v_and_b32_e32 v1, 3, v2
	v_lshlrev_b32_e32 v4, 2, v1
	ds_read_b32 v4, v4 offset:32
	v_cmp_ne_u32_e32 vcc, 3, v1
	v_addc_co_u32_e32 v1, vcc, 0, v2, vcc
	v_lshlrev_b32_e32 v1, 2, v1
	s_waitcnt lgkmcnt(0)
	ds_bpermute_b32 v1, v1, v4
	v_or_b32_e32 v2, 8, v3
	s_waitcnt lgkmcnt(0)
	v_add_f32_e32 v1, v4, v1
	ds_bpermute_b32 v2, v2, v1
	s_waitcnt lgkmcnt(0)
	v_add_f32_e32 v1, v1, v2
.LBB31_445:
	s_or_b64 exec, exec, s[0:1]
	s_mov_b64 s[0:1], 0
	s_branch .LBB31_448
.LBB31_446:
                                        ; implicit-def: $vgpr1
	s_branch .LBB31_474
.LBB31_447:
	s_mov_b64 s[0:1], -1
                                        ; implicit-def: $vgpr1
.LBB31_448:
	s_and_b64 vcc, exec, s[0:1]
	s_cbranch_vccz .LBB31_462
; %bb.449:
	s_sub_i32 s11, s72, s2
	v_mov_b32_e32 v1, 0
	v_cmp_gt_u32_e32 vcc, s11, v0
	v_mov_b32_e32 v2, v1
	s_and_saveexec_b64 s[2:3], vcc
	s_cbranch_execz .LBB31_453
; %bb.450:
	v_add_u32_e32 v2, s10, v0
	v_lshlrev_b32_e32 v3, 12, v2
	s_mov_b32 s0, 0x7ed55d16
	v_add3_u32 v2, v2, v3, s0
	v_lshrrev_b32_e32 v3, 19, v2
	v_xor_b32_e32 v2, v2, v3
	v_xor_b32_e32 v2, 0xc761c23c, v2
	v_lshl_add_u32 v2, v2, 5, v2
	v_mov_b32_e32 v4, 0xaccf6200
	v_add_u32_e32 v3, 0xe9f8cc1d, v2
	v_lshl_add_u32 v2, v2, 9, v4
	v_xor_b32_e32 v2, v3, v2
	v_lshlrev_b32_e32 v3, 3, v2
	s_mov_b32 s0, 0xfd7046c5
	v_add3_u32 v2, v2, v3, s0
	v_xor_b32_sdwa v2, v2, v2 dst_sel:DWORD dst_unused:UNUSED_PAD src0_sel:DWORD src1_sel:WORD_1
	v_xor_b32_e32 v2, 0xb55a4f09, v2
	v_mul_hi_u32 v3, v2, 3
	s_brev_b32 s0, -2
	s_movk_i32 s8, 0x2710
	s_mov_b32 s9, 0xbc8f1391
	v_sub_u32_e32 v4, v2, v3
	v_lshrrev_b32_e32 v4, 1, v4
	v_add_u32_e32 v3, v4, v3
	v_lshrrev_b32_e32 v3, 30, v3
	v_mul_lo_u32 v3, v3, s0
	s_mov_b32 s12, 0xbc8f
	s_brev_b32 s13, 12
	s_mov_b32 s14, 0xf800000
	v_sub_u32_e32 v2, v2, v3
	v_max_u32_e32 v3, 1, v2
	v_mov_b32_e32 v2, 0x260
.LBB31_451:                             ; =>This Inner Loop Header: Depth=1
	v_mul_hi_u32 v4, v3, s9
	v_add_f32_e32 v5, 1.0, v1
	s_add_i32 s8, s8, -2
	s_cmp_lg_u32 s8, 0
	v_lshrrev_b32_e32 v4, 15, v4
	v_mul_u32_u24_e32 v6, 0xadc8, v4
	v_sub_u32_e32 v3, v3, v6
	v_mul_lo_u32 v3, v3, s12
	v_mul_u32_u24_e32 v4, 0xd47, v4
	v_xor_b32_e32 v6, 0x7fffffff, v4
	v_sub_u32_e32 v7, 0, v4
	v_cmp_lt_u32_e32 vcc, v3, v4
	v_cndmask_b32_e32 v4, v7, v6, vcc
	v_add_u32_e32 v3, v4, v3
	v_mul_hi_u32 v6, v3, s9
	v_add_u32_e32 v4, -1, v3
	v_cvt_f32_u32_e32 v4, v4
	v_lshrrev_b32_e32 v6, 15, v6
	v_mul_u32_u24_e32 v7, 0xadc8, v6
	v_sub_u32_e32 v3, v3, v7
	v_mul_lo_u32 v3, v3, s12
	v_mul_u32_u24_e32 v6, 0xd47, v6
	v_xor_b32_e32 v7, 0x7fffffff, v6
	v_sub_u32_e32 v8, 0, v6
	v_cmp_lt_u32_e32 vcc, v3, v6
	v_cndmask_b32_e32 v6, v8, v7, vcc
	v_add_u32_e32 v3, v6, v3
	v_mul_hi_u32 v7, v3, s9
	v_add_u32_e32 v6, -1, v3
	v_cvt_f32_u32_e32 v6, v6
	v_fma_f32 v4, v4, s13, 0
	v_lshrrev_b32_e32 v7, 15, v7
	v_mul_u32_u24_e32 v8, 0xadc8, v7
	v_fma_f32 v6, v6, s13, 0
	v_sub_u32_e32 v3, v3, v8
	v_mul_f32_e32 v6, v6, v6
	v_mul_lo_u32 v3, v3, s12
	v_fmac_f32_e32 v6, v4, v4
	v_mul_f32_e32 v4, 0x4f800000, v6
	v_cmp_gt_f32_e32 vcc, s14, v6
	v_mul_u32_u24_e32 v7, 0xd47, v7
	v_cndmask_b32_e32 v4, v6, v4, vcc
	v_xor_b32_e32 v8, 0x7fffffff, v7
	v_sub_u32_e32 v9, 0, v7
	v_sqrt_f32_e32 v6, v4
	v_cmp_lt_u32_e64 s[0:1], v3, v7
	v_cndmask_b32_e64 v7, v9, v8, s[0:1]
	v_add_u32_e32 v3, v7, v3
	v_mul_hi_u32 v8, v3, s9
	v_add_u32_e32 v9, -1, v6
	v_add_u32_e32 v10, 1, v6
	v_fma_f32 v11, -v9, v6, v4
	v_fma_f32 v12, -v10, v6, v4
	v_cmp_ge_f32_e64 s[0:1], 0, v11
	v_cndmask_b32_e64 v6, v6, v9, s[0:1]
	v_cmp_lt_f32_e64 s[0:1], 0, v12
	v_lshrrev_b32_e32 v8, 15, v8
	v_cndmask_b32_e64 v6, v6, v10, s[0:1]
	v_mul_u32_u24_e32 v10, 0xadc8, v8
	v_add_u32_e32 v7, -1, v3
	v_sub_u32_e32 v3, v3, v10
	v_mul_f32_e32 v9, 0x37800000, v6
	v_mul_lo_u32 v3, v3, s12
	v_cndmask_b32_e32 v6, v6, v9, vcc
	v_cmp_class_f32_e32 vcc, v4, v2
	v_cndmask_b32_e32 v4, v6, v4, vcc
	v_mul_u32_u24_e32 v8, 0xd47, v8
	v_cmp_nge_f32_e32 vcc, 1.0, v4
	v_xor_b32_e32 v9, 0x7fffffff, v8
	v_sub_u32_e32 v10, 0, v8
	v_cndmask_b32_e32 v1, v5, v1, vcc
	v_cmp_lt_u32_e32 vcc, v3, v8
	v_cndmask_b32_e32 v5, v10, v9, vcc
	v_add_u32_e32 v3, v5, v3
	v_add_u32_e32 v5, -1, v3
	v_cvt_f32_u32_e32 v5, v5
	v_cvt_f32_u32_e32 v7, v7
	v_add_f32_e32 v4, 1.0, v1
	v_fma_f32 v5, v5, s13, 0
	v_fma_f32 v7, v7, s13, 0
	v_mul_f32_e32 v5, v5, v5
	v_fmac_f32_e32 v5, v7, v7
	v_mul_f32_e32 v6, 0x4f800000, v5
	v_cmp_gt_f32_e32 vcc, s14, v5
	v_cndmask_b32_e32 v5, v5, v6, vcc
	v_sqrt_f32_e32 v6, v5
	v_add_u32_e32 v7, -1, v6
	v_add_u32_e32 v8, 1, v6
	v_fma_f32 v9, -v7, v6, v5
	v_fma_f32 v10, -v8, v6, v5
	v_cmp_ge_f32_e64 s[0:1], 0, v9
	v_cndmask_b32_e64 v6, v6, v7, s[0:1]
	v_cmp_lt_f32_e64 s[0:1], 0, v10
	v_cndmask_b32_e64 v6, v6, v8, s[0:1]
	v_mul_f32_e32 v7, 0x37800000, v6
	v_cndmask_b32_e32 v6, v6, v7, vcc
	v_cmp_class_f32_e32 vcc, v5, v2
	v_cndmask_b32_e32 v5, v6, v5, vcc
	v_cmp_nge_f32_e32 vcc, 1.0, v5
	v_cndmask_b32_e32 v1, v4, v1, vcc
	s_cbranch_scc1 .LBB31_451
; %bb.452:
	v_mul_f32_e32 v1, 4.0, v1
	s_mov_b32 s8, 0x461c4000
	v_div_scale_f32 v2, s[0:1], s8, s8, v1
	v_div_scale_f32 v3, vcc, v1, s8, v1
	v_rcp_f32_e32 v4, v2
	v_fma_f32 v5, -v2, v4, 1.0
	v_fmac_f32_e32 v4, v5, v4
	v_mul_f32_e32 v5, v3, v4
	v_fma_f32 v6, -v2, v5, v3
	v_fmac_f32_e32 v5, v6, v4
	v_fma_f32 v2, -v2, v5, v3
	v_div_fmas_f32 v2, v2, v4, v5
	v_div_fixup_f32 v1, v2, s8, v1
	v_mov_b32_e32 v2, 0
.LBB31_453:
	s_or_b64 exec, exec, s[2:3]
	v_or_b32_e32 v3, 0x100, v0
	v_cmp_gt_u32_e64 s[0:1], s11, v3
	s_and_saveexec_b64 s[8:9], s[0:1]
	s_cbranch_execz .LBB31_457
; %bb.454:
	v_add_u32_e32 v2, s10, v3
	v_lshlrev_b32_e32 v3, 12, v2
	s_mov_b32 s2, 0x7ed55d16
	v_add3_u32 v2, v2, v3, s2
	v_lshrrev_b32_e32 v3, 19, v2
	v_xor_b32_e32 v2, v2, v3
	v_xor_b32_e32 v2, 0xc761c23c, v2
	v_lshl_add_u32 v2, v2, 5, v2
	v_mov_b32_e32 v4, 0xaccf6200
	v_add_u32_e32 v3, 0xe9f8cc1d, v2
	v_lshl_add_u32 v2, v2, 9, v4
	v_xor_b32_e32 v2, v3, v2
	v_lshlrev_b32_e32 v3, 3, v2
	s_mov_b32 s2, 0xfd7046c5
	v_add3_u32 v2, v2, v3, s2
	v_xor_b32_sdwa v2, v2, v2 dst_sel:DWORD dst_unused:UNUSED_PAD src0_sel:DWORD src1_sel:WORD_1
	v_xor_b32_e32 v2, 0xb55a4f09, v2
	v_mul_hi_u32 v3, v2, 3
	s_brev_b32 s2, -2
	s_movk_i32 s10, 0x2710
	s_mov_b32 s12, 0xbc8f1391
	v_sub_u32_e32 v4, v2, v3
	v_lshrrev_b32_e32 v4, 1, v4
	v_add_u32_e32 v3, v4, v3
	v_lshrrev_b32_e32 v3, 30, v3
	v_mul_lo_u32 v4, v3, s2
	v_mov_b32_e32 v3, 0
	s_mov_b32 s13, 0xbc8f
	s_brev_b32 s14, 12
	v_sub_u32_e32 v2, v2, v4
	v_max_u32_e32 v4, 1, v2
	s_mov_b32 s15, 0xf800000
	v_mov_b32_e32 v2, 0x260
.LBB31_455:                             ; =>This Inner Loop Header: Depth=1
	v_mul_hi_u32 v5, v4, s12
	v_add_f32_e32 v6, 1.0, v3
	s_add_i32 s10, s10, -2
	s_cmp_lg_u32 s10, 0
	v_lshrrev_b32_e32 v5, 15, v5
	v_mul_u32_u24_e32 v7, 0xadc8, v5
	v_sub_u32_e32 v4, v4, v7
	v_mul_lo_u32 v4, v4, s13
	v_mul_u32_u24_e32 v5, 0xd47, v5
	v_xor_b32_e32 v7, 0x7fffffff, v5
	v_sub_u32_e32 v8, 0, v5
	v_cmp_lt_u32_e32 vcc, v4, v5
	v_cndmask_b32_e32 v5, v8, v7, vcc
	v_add_u32_e32 v4, v5, v4
	v_mul_hi_u32 v7, v4, s12
	v_add_u32_e32 v5, -1, v4
	v_cvt_f32_u32_e32 v5, v5
	v_lshrrev_b32_e32 v7, 15, v7
	v_mul_u32_u24_e32 v8, 0xadc8, v7
	v_sub_u32_e32 v4, v4, v8
	v_mul_lo_u32 v4, v4, s13
	v_mul_u32_u24_e32 v7, 0xd47, v7
	v_xor_b32_e32 v8, 0x7fffffff, v7
	v_sub_u32_e32 v9, 0, v7
	v_cmp_lt_u32_e32 vcc, v4, v7
	v_cndmask_b32_e32 v7, v9, v8, vcc
	v_add_u32_e32 v4, v7, v4
	v_mul_hi_u32 v8, v4, s12
	v_add_u32_e32 v7, -1, v4
	v_cvt_f32_u32_e32 v7, v7
	v_fma_f32 v5, v5, s14, 0
	v_lshrrev_b32_e32 v8, 15, v8
	v_mul_u32_u24_e32 v9, 0xadc8, v8
	v_fma_f32 v7, v7, s14, 0
	v_sub_u32_e32 v4, v4, v9
	v_mul_f32_e32 v7, v7, v7
	v_mul_lo_u32 v4, v4, s13
	v_fmac_f32_e32 v7, v5, v5
	v_mul_f32_e32 v5, 0x4f800000, v7
	v_cmp_gt_f32_e32 vcc, s15, v7
	v_mul_u32_u24_e32 v8, 0xd47, v8
	v_cndmask_b32_e32 v5, v7, v5, vcc
	v_xor_b32_e32 v9, 0x7fffffff, v8
	v_sub_u32_e32 v10, 0, v8
	v_sqrt_f32_e32 v7, v5
	v_cmp_lt_u32_e64 s[2:3], v4, v8
	v_cndmask_b32_e64 v8, v10, v9, s[2:3]
	v_add_u32_e32 v4, v8, v4
	v_mul_hi_u32 v9, v4, s12
	v_add_u32_e32 v10, -1, v7
	v_add_u32_e32 v11, 1, v7
	v_fma_f32 v12, -v10, v7, v5
	v_fma_f32 v13, -v11, v7, v5
	v_cmp_ge_f32_e64 s[2:3], 0, v12
	v_cndmask_b32_e64 v7, v7, v10, s[2:3]
	v_cmp_lt_f32_e64 s[2:3], 0, v13
	v_lshrrev_b32_e32 v9, 15, v9
	v_cndmask_b32_e64 v7, v7, v11, s[2:3]
	v_mul_u32_u24_e32 v11, 0xadc8, v9
	v_add_u32_e32 v8, -1, v4
	v_sub_u32_e32 v4, v4, v11
	v_mul_f32_e32 v10, 0x37800000, v7
	v_mul_lo_u32 v4, v4, s13
	v_cndmask_b32_e32 v7, v7, v10, vcc
	v_cmp_class_f32_e32 vcc, v5, v2
	v_cndmask_b32_e32 v5, v7, v5, vcc
	v_mul_u32_u24_e32 v9, 0xd47, v9
	v_cmp_nge_f32_e32 vcc, 1.0, v5
	v_xor_b32_e32 v10, 0x7fffffff, v9
	v_sub_u32_e32 v11, 0, v9
	v_cndmask_b32_e32 v3, v6, v3, vcc
	v_cmp_lt_u32_e32 vcc, v4, v9
	v_cndmask_b32_e32 v6, v11, v10, vcc
	v_add_u32_e32 v4, v6, v4
	v_add_u32_e32 v6, -1, v4
	v_cvt_f32_u32_e32 v6, v6
	v_cvt_f32_u32_e32 v8, v8
	v_add_f32_e32 v5, 1.0, v3
	v_fma_f32 v6, v6, s14, 0
	v_fma_f32 v8, v8, s14, 0
	v_mul_f32_e32 v6, v6, v6
	v_fmac_f32_e32 v6, v8, v8
	v_mul_f32_e32 v7, 0x4f800000, v6
	v_cmp_gt_f32_e32 vcc, s15, v6
	v_cndmask_b32_e32 v6, v6, v7, vcc
	v_sqrt_f32_e32 v7, v6
	v_add_u32_e32 v8, -1, v7
	v_add_u32_e32 v9, 1, v7
	v_fma_f32 v10, -v8, v7, v6
	v_fma_f32 v11, -v9, v7, v6
	v_cmp_ge_f32_e64 s[2:3], 0, v10
	v_cndmask_b32_e64 v7, v7, v8, s[2:3]
	v_cmp_lt_f32_e64 s[2:3], 0, v11
	v_cndmask_b32_e64 v7, v7, v9, s[2:3]
	v_mul_f32_e32 v8, 0x37800000, v7
	v_cndmask_b32_e32 v7, v7, v8, vcc
	v_cmp_class_f32_e32 vcc, v6, v2
	v_cndmask_b32_e32 v6, v7, v6, vcc
	v_cmp_nge_f32_e32 vcc, 1.0, v6
	v_cndmask_b32_e32 v3, v5, v3, vcc
	s_cbranch_scc1 .LBB31_455
; %bb.456:
	v_mul_f32_e32 v2, 4.0, v3
	s_mov_b32 s10, 0x461c4000
	v_div_scale_f32 v3, s[2:3], s10, s10, v2
	v_div_scale_f32 v4, vcc, v2, s10, v2
	v_rcp_f32_e32 v5, v3
	v_fma_f32 v6, -v3, v5, 1.0
	v_fmac_f32_e32 v5, v6, v5
	v_mul_f32_e32 v6, v4, v5
	v_fma_f32 v7, -v3, v6, v4
	v_fmac_f32_e32 v6, v7, v5
	v_fma_f32 v3, -v3, v6, v4
	v_div_fmas_f32 v3, v3, v5, v6
	v_div_fixup_f32 v2, v3, s10, v2
.LBB31_457:
	s_or_b64 exec, exec, s[8:9]
	v_add_f32_e32 v2, v2, v1
	v_cndmask_b32_e64 v1, v1, v2, s[0:1]
	v_mbcnt_lo_u32_b32 v2, -1, 0
	v_mbcnt_hi_u32_b32 v2, -1, v2
	v_and_b32_e32 v4, 63, v2
	v_cmp_ne_u32_e32 vcc, 63, v4
	v_addc_co_u32_e32 v3, vcc, 0, v2, vcc
	v_lshlrev_b32_e32 v3, 2, v3
	ds_bpermute_b32 v3, v3, v1
	s_min_u32 s8, s11, 0x100
	v_and_b32_e32 v5, 0xc0, v0
	v_sub_u32_e64 v5, s8, v5 clamp
	v_add_u32_e32 v6, 1, v4
	v_cmp_gt_u32_e64 s[0:1], 62, v4
	s_waitcnt lgkmcnt(0)
	v_add_f32_e32 v3, v1, v3
	v_cmp_lt_u32_e32 vcc, v6, v5
	v_cndmask_b32_e64 v6, 0, 2, s[0:1]
	v_cndmask_b32_e32 v3, v1, v3, vcc
	v_add_lshl_u32 v6, v6, v2, 2
	ds_bpermute_b32 v6, v6, v3
	v_add_u32_e32 v7, 2, v4
	v_cmp_lt_u32_e64 s[0:1], v7, v5
	v_add_u32_e32 v7, 4, v4
	s_waitcnt lgkmcnt(0)
	v_add_f32_e32 v6, v3, v6
	v_cndmask_b32_e64 v3, v3, v6, s[0:1]
	v_cmp_gt_u32_e64 s[0:1], 60, v4
	v_cndmask_b32_e64 v6, 0, 4, s[0:1]
	v_add_lshl_u32 v6, v6, v2, 2
	ds_bpermute_b32 v6, v6, v3
	v_cmp_lt_u32_e64 s[0:1], v7, v5
	v_add_u32_e32 v7, 8, v4
	s_waitcnt lgkmcnt(0)
	v_add_f32_e32 v6, v3, v6
	v_cndmask_b32_e64 v3, v3, v6, s[0:1]
	v_cmp_gt_u32_e64 s[0:1], 56, v4
	v_cndmask_b32_e64 v6, 0, 8, s[0:1]
	v_add_lshl_u32 v6, v6, v2, 2
	ds_bpermute_b32 v6, v6, v3
	;; [unrolled: 9-line block ×3, first 2 shown]
	v_cmp_lt_u32_e64 s[0:1], v7, v5
	v_add_u32_e32 v4, 32, v4
	s_waitcnt lgkmcnt(0)
	v_add_f32_e32 v6, v3, v6
	v_cndmask_b32_e64 v6, v3, v6, s[0:1]
	v_lshlrev_b32_e32 v3, 2, v2
	v_or_b32_e32 v7, 0x80, v3
	ds_bpermute_b32 v7, v7, v6
	v_cmp_lt_u32_e64 s[0:1], v4, v5
	s_waitcnt lgkmcnt(0)
	v_add_f32_e32 v7, v6, v7
	v_cndmask_b32_e64 v4, v6, v7, s[0:1]
	v_cndmask_b32_e32 v1, v1, v4, vcc
	v_cmp_eq_u32_e32 vcc, 0, v2
	s_and_saveexec_b64 s[0:1], vcc
; %bb.458:
	v_lshrrev_b32_e32 v4, 4, v0
	v_and_b32_e32 v4, 12, v4
	ds_write_b32 v4, v1 offset:96
; %bb.459:
	s_or_b64 exec, exec, s[0:1]
	v_cmp_gt_u32_e32 vcc, 4, v0
	s_waitcnt lgkmcnt(0)
	s_barrier
	s_and_saveexec_b64 s[2:3], vcc
	s_cbranch_execz .LBB31_461
; %bb.460:
	ds_read_b32 v1, v3 offset:96
	v_and_b32_e32 v4, 3, v2
	v_cmp_ne_u32_e32 vcc, 3, v4
	v_addc_co_u32_e32 v2, vcc, 0, v2, vcc
	v_lshlrev_b32_e32 v2, 2, v2
	s_waitcnt lgkmcnt(0)
	ds_bpermute_b32 v2, v2, v1
	s_add_i32 s8, s8, 63
	s_lshr_b32 s0, s8, 6
	v_add_u32_e32 v5, 1, v4
	v_cmp_gt_u32_e32 vcc, s0, v5
	s_waitcnt lgkmcnt(0)
	v_add_f32_e32 v2, v1, v2
	v_cndmask_b32_e32 v2, v1, v2, vcc
	v_or_b32_e32 v3, 8, v3
	ds_bpermute_b32 v3, v3, v2
	v_add_u32_e32 v4, 2, v4
	v_cmp_gt_u32_e64 s[0:1], s0, v4
	s_waitcnt lgkmcnt(0)
	v_add_f32_e32 v3, v2, v3
	v_cndmask_b32_e64 v2, v2, v3, s[0:1]
	v_cndmask_b32_e32 v1, v1, v2, vcc
.LBB31_461:
	s_or_b64 exec, exec, s[2:3]
.LBB31_462:
	v_cmp_eq_u32_e64 s[0:1], 0, v0
	s_branch .LBB31_474
.LBB31_463:
	s_cmp_eq_u32 s70, 1
	s_cbranch_scc0 .LBB31_473
; %bb.464:
	s_lshl_b32 s8, s6, 8
	s_mov_b32 s7, 0
	s_lshr_b64 s[0:1], s[72:73], 8
	s_cmp_lg_u64 s[0:1], s[6:7]
	s_cbranch_scc0 .LBB31_477
; %bb.465:
	s_add_i32 s0, s71, s8
	v_add_u32_e32 v1, s0, v0
	v_lshlrev_b32_e32 v2, 12, v1
	s_mov_b32 s0, 0x7ed55d16
	v_add3_u32 v1, v1, v2, s0
	v_lshrrev_b32_e32 v2, 19, v1
	v_xor_b32_e32 v1, v1, v2
	v_xor_b32_e32 v1, 0xc761c23c, v1
	v_lshl_add_u32 v1, v1, 5, v1
	v_mov_b32_e32 v3, 0xaccf6200
	v_add_u32_e32 v2, 0xe9f8cc1d, v1
	v_lshl_add_u32 v1, v1, 9, v3
	v_xor_b32_e32 v1, v2, v1
	v_lshlrev_b32_e32 v2, 3, v1
	s_mov_b32 s0, 0xfd7046c5
	v_add3_u32 v1, v1, v2, s0
	v_xor_b32_sdwa v1, v1, v1 dst_sel:DWORD dst_unused:UNUSED_PAD src0_sel:DWORD src1_sel:WORD_1
	v_xor_b32_e32 v1, 0xb55a4f09, v1
	v_mul_hi_u32 v2, v1, 3
	s_brev_b32 s0, -2
	s_movk_i32 s2, 0x2710
	s_mov_b32 s3, 0xbc8f1391
	v_sub_u32_e32 v3, v1, v2
	v_lshrrev_b32_e32 v3, 1, v3
	v_add_u32_e32 v2, v3, v2
	v_lshrrev_b32_e32 v2, 30, v2
	v_mul_lo_u32 v3, v2, s0
	v_mov_b32_e32 v2, 0
	s_mov_b32 s9, 0xbc8f
	s_brev_b32 s10, 12
	v_sub_u32_e32 v1, v1, v3
	v_max_u32_e32 v3, 1, v1
	s_mov_b32 s11, 0xf800000
	v_mov_b32_e32 v1, 0x260
.LBB31_466:                             ; =>This Inner Loop Header: Depth=1
	v_mul_hi_u32 v4, v3, s3
	v_add_f32_e32 v5, 1.0, v2
	s_add_i32 s2, s2, -2
	s_cmp_lg_u32 s2, 0
	v_lshrrev_b32_e32 v4, 15, v4
	v_mul_u32_u24_e32 v6, 0xadc8, v4
	v_sub_u32_e32 v3, v3, v6
	v_mul_lo_u32 v3, v3, s9
	v_mul_u32_u24_e32 v4, 0xd47, v4
	v_xor_b32_e32 v6, 0x7fffffff, v4
	v_sub_u32_e32 v7, 0, v4
	v_cmp_lt_u32_e32 vcc, v3, v4
	v_cndmask_b32_e32 v4, v7, v6, vcc
	v_add_u32_e32 v3, v4, v3
	v_mul_hi_u32 v6, v3, s3
	v_add_u32_e32 v4, -1, v3
	v_cvt_f32_u32_e32 v4, v4
	v_lshrrev_b32_e32 v6, 15, v6
	v_mul_u32_u24_e32 v7, 0xadc8, v6
	v_sub_u32_e32 v3, v3, v7
	v_mul_lo_u32 v3, v3, s9
	v_mul_u32_u24_e32 v6, 0xd47, v6
	v_xor_b32_e32 v7, 0x7fffffff, v6
	v_sub_u32_e32 v8, 0, v6
	v_cmp_lt_u32_e32 vcc, v3, v6
	v_cndmask_b32_e32 v6, v8, v7, vcc
	v_add_u32_e32 v3, v6, v3
	v_mul_hi_u32 v7, v3, s3
	v_add_u32_e32 v6, -1, v3
	v_cvt_f32_u32_e32 v6, v6
	v_fma_f32 v4, v4, s10, 0
	v_lshrrev_b32_e32 v7, 15, v7
	v_mul_u32_u24_e32 v8, 0xadc8, v7
	v_fma_f32 v6, v6, s10, 0
	v_sub_u32_e32 v3, v3, v8
	v_mul_f32_e32 v6, v6, v6
	v_mul_lo_u32 v3, v3, s9
	v_fmac_f32_e32 v6, v4, v4
	v_mul_f32_e32 v4, 0x4f800000, v6
	v_cmp_gt_f32_e32 vcc, s11, v6
	v_mul_u32_u24_e32 v7, 0xd47, v7
	v_cndmask_b32_e32 v4, v6, v4, vcc
	v_xor_b32_e32 v8, 0x7fffffff, v7
	v_sub_u32_e32 v9, 0, v7
	v_sqrt_f32_e32 v6, v4
	v_cmp_lt_u32_e64 s[0:1], v3, v7
	v_cndmask_b32_e64 v7, v9, v8, s[0:1]
	v_add_u32_e32 v3, v7, v3
	v_mul_hi_u32 v8, v3, s3
	v_add_u32_e32 v9, -1, v6
	v_add_u32_e32 v10, 1, v6
	v_fma_f32 v11, -v9, v6, v4
	v_fma_f32 v12, -v10, v6, v4
	v_cmp_ge_f32_e64 s[0:1], 0, v11
	v_cndmask_b32_e64 v6, v6, v9, s[0:1]
	v_cmp_lt_f32_e64 s[0:1], 0, v12
	v_lshrrev_b32_e32 v8, 15, v8
	v_cndmask_b32_e64 v6, v6, v10, s[0:1]
	v_mul_u32_u24_e32 v10, 0xadc8, v8
	v_add_u32_e32 v7, -1, v3
	v_sub_u32_e32 v3, v3, v10
	v_mul_f32_e32 v9, 0x37800000, v6
	v_mul_lo_u32 v3, v3, s9
	v_cndmask_b32_e32 v6, v6, v9, vcc
	v_cmp_class_f32_e32 vcc, v4, v1
	v_cndmask_b32_e32 v4, v6, v4, vcc
	v_mul_u32_u24_e32 v8, 0xd47, v8
	v_cmp_nge_f32_e32 vcc, 1.0, v4
	v_xor_b32_e32 v9, 0x7fffffff, v8
	v_sub_u32_e32 v10, 0, v8
	v_cndmask_b32_e32 v2, v5, v2, vcc
	v_cmp_lt_u32_e32 vcc, v3, v8
	v_cndmask_b32_e32 v5, v10, v9, vcc
	v_add_u32_e32 v3, v5, v3
	v_add_u32_e32 v5, -1, v3
	v_cvt_f32_u32_e32 v5, v5
	v_cvt_f32_u32_e32 v7, v7
	v_add_f32_e32 v4, 1.0, v2
	v_fma_f32 v5, v5, s10, 0
	v_fma_f32 v7, v7, s10, 0
	v_mul_f32_e32 v5, v5, v5
	v_fmac_f32_e32 v5, v7, v7
	v_mul_f32_e32 v6, 0x4f800000, v5
	v_cmp_gt_f32_e32 vcc, s11, v5
	v_cndmask_b32_e32 v5, v5, v6, vcc
	v_sqrt_f32_e32 v6, v5
	v_add_u32_e32 v7, -1, v6
	v_add_u32_e32 v8, 1, v6
	v_fma_f32 v9, -v7, v6, v5
	v_fma_f32 v10, -v8, v6, v5
	v_cmp_ge_f32_e64 s[0:1], 0, v9
	v_cndmask_b32_e64 v6, v6, v7, s[0:1]
	v_cmp_lt_f32_e64 s[0:1], 0, v10
	v_cndmask_b32_e64 v6, v6, v8, s[0:1]
	v_mul_f32_e32 v7, 0x37800000, v6
	v_cndmask_b32_e32 v6, v6, v7, vcc
	v_cmp_class_f32_e32 vcc, v5, v1
	v_cndmask_b32_e32 v5, v6, v5, vcc
	v_cmp_nge_f32_e32 vcc, 1.0, v5
	v_cndmask_b32_e32 v2, v4, v2, vcc
	s_cbranch_scc1 .LBB31_466
; %bb.467:
	v_mul_f32_e32 v1, 4.0, v2
	s_mov_b32 s2, 0x461c4000
	v_div_scale_f32 v2, s[0:1], s2, s2, v1
	v_div_scale_f32 v3, vcc, v1, s2, v1
	v_rcp_f32_e32 v4, v2
	v_fma_f32 v5, -v2, v4, 1.0
	v_fmac_f32_e32 v4, v5, v4
	v_mul_f32_e32 v5, v3, v4
	v_fma_f32 v6, -v2, v5, v3
	v_fmac_f32_e32 v5, v6, v4
	v_fma_f32 v2, -v2, v5, v3
	v_div_fmas_f32 v4, v2, v4, v5
	v_mbcnt_lo_u32_b32 v2, -1, 0
	v_mbcnt_hi_u32_b32 v2, -1, v2
	v_lshlrev_b32_e32 v3, 2, v2
	v_cmp_eq_u32_e32 vcc, 0, v2
	v_div_fixup_f32 v1, v4, s2, v1
	s_nop 1
	v_add_f32_dpp v1, v1, v1 quad_perm:[1,0,3,2] row_mask:0xf bank_mask:0xf bound_ctrl:1
	v_or_b32_e32 v4, 0xfc, v3
	s_nop 0
	v_add_f32_dpp v1, v1, v1 quad_perm:[2,3,0,1] row_mask:0xf bank_mask:0xf bound_ctrl:1
	s_nop 1
	v_add_f32_dpp v1, v1, v1 row_ror:4 row_mask:0xf bank_mask:0xf bound_ctrl:1
	s_nop 1
	v_add_f32_dpp v1, v1, v1 row_ror:8 row_mask:0xf bank_mask:0xf bound_ctrl:1
	s_nop 1
	v_add_f32_dpp v1, v1, v1 row_bcast:15 row_mask:0xf bank_mask:0xf bound_ctrl:1
	s_nop 1
	v_add_f32_dpp v1, v1, v1 row_bcast:31 row_mask:0xf bank_mask:0xf bound_ctrl:1
	ds_bpermute_b32 v1, v4, v1
	s_and_saveexec_b64 s[0:1], vcc
	s_cbranch_execz .LBB31_469
; %bb.468:
	v_lshrrev_b32_e32 v4, 4, v0
	v_and_b32_e32 v4, 12, v4
	s_waitcnt lgkmcnt(0)
	ds_write_b32 v4, v1 offset:16
.LBB31_469:
	s_or_b64 exec, exec, s[0:1]
	v_cmp_gt_u32_e32 vcc, 64, v0
	s_waitcnt lgkmcnt(0)
	s_barrier
	s_and_saveexec_b64 s[0:1], vcc
	s_cbranch_execz .LBB31_471
; %bb.470:
	v_and_b32_e32 v1, 3, v2
	v_lshlrev_b32_e32 v4, 2, v1
	ds_read_b32 v4, v4 offset:16
	v_cmp_ne_u32_e32 vcc, 3, v1
	v_addc_co_u32_e32 v1, vcc, 0, v2, vcc
	v_lshlrev_b32_e32 v1, 2, v1
	s_waitcnt lgkmcnt(0)
	ds_bpermute_b32 v1, v1, v4
	v_or_b32_e32 v2, 8, v3
	s_waitcnt lgkmcnt(0)
	v_add_f32_e32 v1, v4, v1
	ds_bpermute_b32 v2, v2, v1
	s_waitcnt lgkmcnt(0)
	v_add_f32_e32 v1, v1, v2
.LBB31_471:
	s_or_b64 exec, exec, s[0:1]
.LBB31_472:
	v_cmp_eq_u32_e64 s[0:1], 0, v0
	s_and_saveexec_b64 s[2:3], s[0:1]
	s_cbranch_execnz .LBB31_475
	s_branch .LBB31_476
.LBB31_473:
                                        ; implicit-def: $vgpr1
                                        ; implicit-def: $sgpr6_sgpr7
.LBB31_474:
	s_and_saveexec_b64 s[2:3], s[0:1]
	s_cbranch_execz .LBB31_476
.LBB31_475:
	s_load_dword s2, s[4:5], 0x20
	s_lshl_b64 s[0:1], s[6:7], 2
	s_add_u32 s0, s74, s0
	s_addc_u32 s1, s75, s1
	s_cmp_eq_u64 s[72:73], 0
	s_waitcnt lgkmcnt(0)
	v_add_f32_e32 v1, s2, v1
	v_mov_b32_e32 v2, s2
	s_cselect_b64 vcc, -1, 0
	v_mov_b32_e32 v0, 0
	v_cndmask_b32_e32 v1, v1, v2, vcc
	global_store_dword v0, v1, s[0:1]
.LBB31_476:
	s_endpgm
.LBB31_477:
                                        ; implicit-def: $vgpr1
	s_cbranch_execz .LBB31_472
; %bb.478:
	s_sub_i32 s9, s72, s8
	v_cmp_gt_u32_e32 vcc, s9, v0
                                        ; implicit-def: $vgpr1
	s_and_saveexec_b64 s[2:3], vcc
	s_cbranch_execz .LBB31_482
; %bb.479:
	s_add_i32 s0, s71, s8
	v_add_u32_e32 v1, s0, v0
	v_lshlrev_b32_e32 v2, 12, v1
	s_mov_b32 s0, 0x7ed55d16
	v_add3_u32 v1, v1, v2, s0
	v_lshrrev_b32_e32 v2, 19, v1
	v_xor_b32_e32 v1, v1, v2
	v_xor_b32_e32 v1, 0xc761c23c, v1
	v_lshl_add_u32 v1, v1, 5, v1
	v_mov_b32_e32 v3, 0xaccf6200
	v_add_u32_e32 v2, 0xe9f8cc1d, v1
	v_lshl_add_u32 v1, v1, 9, v3
	v_xor_b32_e32 v1, v2, v1
	v_lshlrev_b32_e32 v2, 3, v1
	s_mov_b32 s0, 0xfd7046c5
	v_add3_u32 v1, v1, v2, s0
	v_xor_b32_sdwa v1, v1, v1 dst_sel:DWORD dst_unused:UNUSED_PAD src0_sel:DWORD src1_sel:WORD_1
	v_xor_b32_e32 v1, 0xb55a4f09, v1
	v_mul_hi_u32 v2, v1, 3
	s_brev_b32 s0, -2
	s_movk_i32 s8, 0x2710
	s_mov_b32 s10, 0xbc8f1391
	v_sub_u32_e32 v3, v1, v2
	v_lshrrev_b32_e32 v3, 1, v3
	v_add_u32_e32 v2, v3, v2
	v_lshrrev_b32_e32 v2, 30, v2
	v_mul_lo_u32 v3, v2, s0
	v_mov_b32_e32 v2, 0
	s_mov_b32 s11, 0xbc8f
	s_brev_b32 s12, 12
	v_sub_u32_e32 v1, v1, v3
	v_max_u32_e32 v3, 1, v1
	s_mov_b32 s13, 0xf800000
	v_mov_b32_e32 v1, 0x260
.LBB31_480:                             ; =>This Inner Loop Header: Depth=1
	v_mul_hi_u32 v4, v3, s10
	v_add_f32_e32 v5, 1.0, v2
	s_add_i32 s8, s8, -2
	s_cmp_lg_u32 s8, 0
	v_lshrrev_b32_e32 v4, 15, v4
	v_mul_u32_u24_e32 v6, 0xadc8, v4
	v_sub_u32_e32 v3, v3, v6
	v_mul_lo_u32 v3, v3, s11
	v_mul_u32_u24_e32 v4, 0xd47, v4
	v_xor_b32_e32 v6, 0x7fffffff, v4
	v_sub_u32_e32 v7, 0, v4
	v_cmp_lt_u32_e32 vcc, v3, v4
	v_cndmask_b32_e32 v4, v7, v6, vcc
	v_add_u32_e32 v3, v4, v3
	v_mul_hi_u32 v6, v3, s10
	v_add_u32_e32 v4, -1, v3
	v_cvt_f32_u32_e32 v4, v4
	v_lshrrev_b32_e32 v6, 15, v6
	v_mul_u32_u24_e32 v7, 0xadc8, v6
	v_sub_u32_e32 v3, v3, v7
	v_mul_lo_u32 v3, v3, s11
	v_mul_u32_u24_e32 v6, 0xd47, v6
	v_xor_b32_e32 v7, 0x7fffffff, v6
	v_sub_u32_e32 v8, 0, v6
	v_cmp_lt_u32_e32 vcc, v3, v6
	v_cndmask_b32_e32 v6, v8, v7, vcc
	v_add_u32_e32 v3, v6, v3
	v_mul_hi_u32 v7, v3, s10
	v_add_u32_e32 v6, -1, v3
	v_cvt_f32_u32_e32 v6, v6
	v_fma_f32 v4, v4, s12, 0
	v_lshrrev_b32_e32 v7, 15, v7
	v_mul_u32_u24_e32 v8, 0xadc8, v7
	v_fma_f32 v6, v6, s12, 0
	v_sub_u32_e32 v3, v3, v8
	v_mul_f32_e32 v6, v6, v6
	v_mul_lo_u32 v3, v3, s11
	v_fmac_f32_e32 v6, v4, v4
	v_mul_f32_e32 v4, 0x4f800000, v6
	v_cmp_gt_f32_e32 vcc, s13, v6
	v_mul_u32_u24_e32 v7, 0xd47, v7
	v_cndmask_b32_e32 v4, v6, v4, vcc
	v_xor_b32_e32 v8, 0x7fffffff, v7
	v_sub_u32_e32 v9, 0, v7
	v_sqrt_f32_e32 v6, v4
	v_cmp_lt_u32_e64 s[0:1], v3, v7
	v_cndmask_b32_e64 v7, v9, v8, s[0:1]
	v_add_u32_e32 v3, v7, v3
	v_mul_hi_u32 v8, v3, s10
	v_add_u32_e32 v9, -1, v6
	v_add_u32_e32 v10, 1, v6
	v_fma_f32 v11, -v9, v6, v4
	v_fma_f32 v12, -v10, v6, v4
	v_cmp_ge_f32_e64 s[0:1], 0, v11
	v_cndmask_b32_e64 v6, v6, v9, s[0:1]
	v_cmp_lt_f32_e64 s[0:1], 0, v12
	v_lshrrev_b32_e32 v8, 15, v8
	v_cndmask_b32_e64 v6, v6, v10, s[0:1]
	v_mul_u32_u24_e32 v10, 0xadc8, v8
	v_add_u32_e32 v7, -1, v3
	v_sub_u32_e32 v3, v3, v10
	v_mul_f32_e32 v9, 0x37800000, v6
	v_mul_lo_u32 v3, v3, s11
	v_cndmask_b32_e32 v6, v6, v9, vcc
	v_cmp_class_f32_e32 vcc, v4, v1
	v_cndmask_b32_e32 v4, v6, v4, vcc
	v_mul_u32_u24_e32 v8, 0xd47, v8
	v_cmp_nge_f32_e32 vcc, 1.0, v4
	v_xor_b32_e32 v9, 0x7fffffff, v8
	v_sub_u32_e32 v10, 0, v8
	v_cndmask_b32_e32 v2, v5, v2, vcc
	v_cmp_lt_u32_e32 vcc, v3, v8
	v_cndmask_b32_e32 v5, v10, v9, vcc
	v_add_u32_e32 v3, v5, v3
	v_add_u32_e32 v5, -1, v3
	v_cvt_f32_u32_e32 v5, v5
	v_cvt_f32_u32_e32 v7, v7
	v_add_f32_e32 v4, 1.0, v2
	v_fma_f32 v5, v5, s12, 0
	v_fma_f32 v7, v7, s12, 0
	v_mul_f32_e32 v5, v5, v5
	v_fmac_f32_e32 v5, v7, v7
	v_mul_f32_e32 v6, 0x4f800000, v5
	v_cmp_gt_f32_e32 vcc, s13, v5
	v_cndmask_b32_e32 v5, v5, v6, vcc
	v_sqrt_f32_e32 v6, v5
	v_add_u32_e32 v7, -1, v6
	v_add_u32_e32 v8, 1, v6
	v_fma_f32 v9, -v7, v6, v5
	v_fma_f32 v10, -v8, v6, v5
	v_cmp_ge_f32_e64 s[0:1], 0, v9
	v_cndmask_b32_e64 v6, v6, v7, s[0:1]
	v_cmp_lt_f32_e64 s[0:1], 0, v10
	v_cndmask_b32_e64 v6, v6, v8, s[0:1]
	v_mul_f32_e32 v7, 0x37800000, v6
	v_cndmask_b32_e32 v6, v6, v7, vcc
	v_cmp_class_f32_e32 vcc, v5, v1
	v_cndmask_b32_e32 v5, v6, v5, vcc
	v_cmp_nge_f32_e32 vcc, 1.0, v5
	v_cndmask_b32_e32 v2, v4, v2, vcc
	s_cbranch_scc1 .LBB31_480
; %bb.481:
	v_mul_f32_e32 v1, 4.0, v2
	s_mov_b32 s8, 0x461c4000
	v_div_scale_f32 v2, s[0:1], s8, s8, v1
	v_div_scale_f32 v3, vcc, v1, s8, v1
	v_rcp_f32_e32 v4, v2
	v_fma_f32 v5, -v2, v4, 1.0
	v_fmac_f32_e32 v4, v5, v4
	v_mul_f32_e32 v5, v3, v4
	v_fma_f32 v6, -v2, v5, v3
	v_fmac_f32_e32 v5, v6, v4
	v_fma_f32 v2, -v2, v5, v3
	v_div_fmas_f32 v2, v2, v4, v5
	v_div_fixup_f32 v1, v2, s8, v1
.LBB31_482:
	s_or_b64 exec, exec, s[2:3]
	v_mbcnt_lo_u32_b32 v2, -1, 0
	v_mbcnt_hi_u32_b32 v2, -1, v2
	v_and_b32_e32 v4, 63, v2
	v_cmp_ne_u32_e32 vcc, 63, v4
	v_addc_co_u32_e32 v3, vcc, 0, v2, vcc
	v_lshlrev_b32_e32 v3, 2, v3
	ds_bpermute_b32 v3, v3, v1
	s_min_u32 s8, s9, 0x100
	v_and_b32_e32 v5, 0xc0, v0
	v_sub_u32_e64 v5, s8, v5 clamp
	v_add_u32_e32 v6, 1, v4
	v_cmp_gt_u32_e64 s[0:1], 62, v4
	s_waitcnt lgkmcnt(0)
	v_add_f32_e32 v3, v1, v3
	v_cmp_lt_u32_e32 vcc, v6, v5
	v_cndmask_b32_e64 v6, 0, 2, s[0:1]
	v_cndmask_b32_e32 v3, v1, v3, vcc
	v_add_lshl_u32 v6, v6, v2, 2
	ds_bpermute_b32 v6, v6, v3
	v_add_u32_e32 v7, 2, v4
	v_cmp_lt_u32_e64 s[0:1], v7, v5
	v_add_u32_e32 v7, 4, v4
	s_waitcnt lgkmcnt(0)
	v_add_f32_e32 v6, v3, v6
	v_cndmask_b32_e64 v3, v3, v6, s[0:1]
	v_cmp_gt_u32_e64 s[0:1], 60, v4
	v_cndmask_b32_e64 v6, 0, 4, s[0:1]
	v_add_lshl_u32 v6, v6, v2, 2
	ds_bpermute_b32 v6, v6, v3
	v_cmp_lt_u32_e64 s[0:1], v7, v5
	v_add_u32_e32 v7, 8, v4
	s_waitcnt lgkmcnt(0)
	v_add_f32_e32 v6, v3, v6
	v_cndmask_b32_e64 v3, v3, v6, s[0:1]
	v_cmp_gt_u32_e64 s[0:1], 56, v4
	v_cndmask_b32_e64 v6, 0, 8, s[0:1]
	v_add_lshl_u32 v6, v6, v2, 2
	ds_bpermute_b32 v6, v6, v3
	;; [unrolled: 9-line block ×3, first 2 shown]
	v_cmp_lt_u32_e64 s[0:1], v7, v5
	v_add_u32_e32 v4, 32, v4
	s_waitcnt lgkmcnt(0)
	v_add_f32_e32 v6, v3, v6
	v_cndmask_b32_e64 v6, v3, v6, s[0:1]
	v_lshlrev_b32_e32 v3, 2, v2
	v_or_b32_e32 v7, 0x80, v3
	ds_bpermute_b32 v7, v7, v6
	v_cmp_lt_u32_e64 s[0:1], v4, v5
	s_waitcnt lgkmcnt(0)
	v_add_f32_e32 v7, v6, v7
	v_cndmask_b32_e64 v4, v6, v7, s[0:1]
	v_cndmask_b32_e32 v1, v1, v4, vcc
	v_cmp_eq_u32_e32 vcc, 0, v2
	s_and_saveexec_b64 s[0:1], vcc
; %bb.483:
	v_lshrrev_b32_e32 v4, 4, v0
	v_and_b32_e32 v4, 12, v4
	ds_write_b32 v4, v1 offset:96
; %bb.484:
	s_or_b64 exec, exec, s[0:1]
	v_cmp_gt_u32_e32 vcc, 4, v0
	s_waitcnt lgkmcnt(0)
	s_barrier
	s_and_saveexec_b64 s[2:3], vcc
	s_cbranch_execz .LBB31_486
; %bb.485:
	ds_read_b32 v1, v3 offset:96
	v_and_b32_e32 v4, 3, v2
	v_cmp_ne_u32_e32 vcc, 3, v4
	v_addc_co_u32_e32 v2, vcc, 0, v2, vcc
	v_lshlrev_b32_e32 v2, 2, v2
	s_waitcnt lgkmcnt(0)
	ds_bpermute_b32 v2, v2, v1
	s_add_i32 s8, s8, 63
	s_lshr_b32 s0, s8, 6
	v_add_u32_e32 v5, 1, v4
	v_cmp_gt_u32_e32 vcc, s0, v5
	s_waitcnt lgkmcnt(0)
	v_add_f32_e32 v2, v1, v2
	v_cndmask_b32_e32 v2, v1, v2, vcc
	v_or_b32_e32 v3, 8, v3
	ds_bpermute_b32 v3, v3, v2
	v_add_u32_e32 v4, 2, v4
	v_cmp_gt_u32_e64 s[0:1], s0, v4
	s_waitcnt lgkmcnt(0)
	v_add_f32_e32 v3, v2, v3
	v_cndmask_b32_e64 v2, v2, v3, s[0:1]
	v_cndmask_b32_e32 v1, v1, v2, vcc
.LBB31_486:
	s_or_b64 exec, exec, s[2:3]
	v_cmp_eq_u32_e64 s[0:1], 0, v0
	s_and_saveexec_b64 s[2:3], s[0:1]
	s_cbranch_execnz .LBB31_475
	s_branch .LBB31_476
	.section	.rodata,"a",@progbits
	.p2align	6, 0x0
	.amdhsa_kernel _ZN7rocprim17ROCPRIM_400000_NS6detail17trampoline_kernelINS0_14default_configENS1_22reduce_config_selectorIfEEZNS1_11reduce_implILb1ES3_N6thrust23THRUST_200600_302600_NS11hip_rocprim26transform_input_iterator_tIfNS8_17counting_iteratorIiNS8_11use_defaultESC_SC_EE11estimate_piEEPffNS8_4plusIfEEEE10hipError_tPvRmT1_T2_T3_mT4_P12ihipStream_tbEUlT_E1_NS1_11comp_targetILNS1_3genE2ELNS1_11target_archE906ELNS1_3gpuE6ELNS1_3repE0EEENS1_30default_config_static_selectorELNS0_4arch9wavefront6targetE1EEEvSM_
		.amdhsa_group_segment_fixed_size 112
		.amdhsa_private_segment_fixed_size 0
		.amdhsa_kernarg_size 40
		.amdhsa_user_sgpr_count 6
		.amdhsa_user_sgpr_private_segment_buffer 1
		.amdhsa_user_sgpr_dispatch_ptr 0
		.amdhsa_user_sgpr_queue_ptr 0
		.amdhsa_user_sgpr_kernarg_segment_ptr 1
		.amdhsa_user_sgpr_dispatch_id 0
		.amdhsa_user_sgpr_flat_scratch_init 0
		.amdhsa_user_sgpr_private_segment_size 0
		.amdhsa_uses_dynamic_stack 0
		.amdhsa_system_sgpr_private_segment_wavefront_offset 0
		.amdhsa_system_sgpr_workgroup_id_x 1
		.amdhsa_system_sgpr_workgroup_id_y 0
		.amdhsa_system_sgpr_workgroup_id_z 0
		.amdhsa_system_sgpr_workgroup_info 0
		.amdhsa_system_vgpr_workitem_id 0
		.amdhsa_next_free_vgpr 40
		.amdhsa_next_free_sgpr 85
		.amdhsa_reserve_vcc 1
		.amdhsa_reserve_flat_scratch 0
		.amdhsa_float_round_mode_32 0
		.amdhsa_float_round_mode_16_64 0
		.amdhsa_float_denorm_mode_32 3
		.amdhsa_float_denorm_mode_16_64 3
		.amdhsa_dx10_clamp 1
		.amdhsa_ieee_mode 1
		.amdhsa_fp16_overflow 0
		.amdhsa_exception_fp_ieee_invalid_op 0
		.amdhsa_exception_fp_denorm_src 0
		.amdhsa_exception_fp_ieee_div_zero 0
		.amdhsa_exception_fp_ieee_overflow 0
		.amdhsa_exception_fp_ieee_underflow 0
		.amdhsa_exception_fp_ieee_inexact 0
		.amdhsa_exception_int_div_zero 0
	.end_amdhsa_kernel
	.section	.text._ZN7rocprim17ROCPRIM_400000_NS6detail17trampoline_kernelINS0_14default_configENS1_22reduce_config_selectorIfEEZNS1_11reduce_implILb1ES3_N6thrust23THRUST_200600_302600_NS11hip_rocprim26transform_input_iterator_tIfNS8_17counting_iteratorIiNS8_11use_defaultESC_SC_EE11estimate_piEEPffNS8_4plusIfEEEE10hipError_tPvRmT1_T2_T3_mT4_P12ihipStream_tbEUlT_E1_NS1_11comp_targetILNS1_3genE2ELNS1_11target_archE906ELNS1_3gpuE6ELNS1_3repE0EEENS1_30default_config_static_selectorELNS0_4arch9wavefront6targetE1EEEvSM_,"axG",@progbits,_ZN7rocprim17ROCPRIM_400000_NS6detail17trampoline_kernelINS0_14default_configENS1_22reduce_config_selectorIfEEZNS1_11reduce_implILb1ES3_N6thrust23THRUST_200600_302600_NS11hip_rocprim26transform_input_iterator_tIfNS8_17counting_iteratorIiNS8_11use_defaultESC_SC_EE11estimate_piEEPffNS8_4plusIfEEEE10hipError_tPvRmT1_T2_T3_mT4_P12ihipStream_tbEUlT_E1_NS1_11comp_targetILNS1_3genE2ELNS1_11target_archE906ELNS1_3gpuE6ELNS1_3repE0EEENS1_30default_config_static_selectorELNS0_4arch9wavefront6targetE1EEEvSM_,comdat
.Lfunc_end31:
	.size	_ZN7rocprim17ROCPRIM_400000_NS6detail17trampoline_kernelINS0_14default_configENS1_22reduce_config_selectorIfEEZNS1_11reduce_implILb1ES3_N6thrust23THRUST_200600_302600_NS11hip_rocprim26transform_input_iterator_tIfNS8_17counting_iteratorIiNS8_11use_defaultESC_SC_EE11estimate_piEEPffNS8_4plusIfEEEE10hipError_tPvRmT1_T2_T3_mT4_P12ihipStream_tbEUlT_E1_NS1_11comp_targetILNS1_3genE2ELNS1_11target_archE906ELNS1_3gpuE6ELNS1_3repE0EEENS1_30default_config_static_selectorELNS0_4arch9wavefront6targetE1EEEvSM_, .Lfunc_end31-_ZN7rocprim17ROCPRIM_400000_NS6detail17trampoline_kernelINS0_14default_configENS1_22reduce_config_selectorIfEEZNS1_11reduce_implILb1ES3_N6thrust23THRUST_200600_302600_NS11hip_rocprim26transform_input_iterator_tIfNS8_17counting_iteratorIiNS8_11use_defaultESC_SC_EE11estimate_piEEPffNS8_4plusIfEEEE10hipError_tPvRmT1_T2_T3_mT4_P12ihipStream_tbEUlT_E1_NS1_11comp_targetILNS1_3genE2ELNS1_11target_archE906ELNS1_3gpuE6ELNS1_3repE0EEENS1_30default_config_static_selectorELNS0_4arch9wavefront6targetE1EEEvSM_
                                        ; -- End function
	.set _ZN7rocprim17ROCPRIM_400000_NS6detail17trampoline_kernelINS0_14default_configENS1_22reduce_config_selectorIfEEZNS1_11reduce_implILb1ES3_N6thrust23THRUST_200600_302600_NS11hip_rocprim26transform_input_iterator_tIfNS8_17counting_iteratorIiNS8_11use_defaultESC_SC_EE11estimate_piEEPffNS8_4plusIfEEEE10hipError_tPvRmT1_T2_T3_mT4_P12ihipStream_tbEUlT_E1_NS1_11comp_targetILNS1_3genE2ELNS1_11target_archE906ELNS1_3gpuE6ELNS1_3repE0EEENS1_30default_config_static_selectorELNS0_4arch9wavefront6targetE1EEEvSM_.num_vgpr, 40
	.set _ZN7rocprim17ROCPRIM_400000_NS6detail17trampoline_kernelINS0_14default_configENS1_22reduce_config_selectorIfEEZNS1_11reduce_implILb1ES3_N6thrust23THRUST_200600_302600_NS11hip_rocprim26transform_input_iterator_tIfNS8_17counting_iteratorIiNS8_11use_defaultESC_SC_EE11estimate_piEEPffNS8_4plusIfEEEE10hipError_tPvRmT1_T2_T3_mT4_P12ihipStream_tbEUlT_E1_NS1_11comp_targetILNS1_3genE2ELNS1_11target_archE906ELNS1_3gpuE6ELNS1_3repE0EEENS1_30default_config_static_selectorELNS0_4arch9wavefront6targetE1EEEvSM_.num_agpr, 0
	.set _ZN7rocprim17ROCPRIM_400000_NS6detail17trampoline_kernelINS0_14default_configENS1_22reduce_config_selectorIfEEZNS1_11reduce_implILb1ES3_N6thrust23THRUST_200600_302600_NS11hip_rocprim26transform_input_iterator_tIfNS8_17counting_iteratorIiNS8_11use_defaultESC_SC_EE11estimate_piEEPffNS8_4plusIfEEEE10hipError_tPvRmT1_T2_T3_mT4_P12ihipStream_tbEUlT_E1_NS1_11comp_targetILNS1_3genE2ELNS1_11target_archE906ELNS1_3gpuE6ELNS1_3repE0EEENS1_30default_config_static_selectorELNS0_4arch9wavefront6targetE1EEEvSM_.numbered_sgpr, 85
	.set _ZN7rocprim17ROCPRIM_400000_NS6detail17trampoline_kernelINS0_14default_configENS1_22reduce_config_selectorIfEEZNS1_11reduce_implILb1ES3_N6thrust23THRUST_200600_302600_NS11hip_rocprim26transform_input_iterator_tIfNS8_17counting_iteratorIiNS8_11use_defaultESC_SC_EE11estimate_piEEPffNS8_4plusIfEEEE10hipError_tPvRmT1_T2_T3_mT4_P12ihipStream_tbEUlT_E1_NS1_11comp_targetILNS1_3genE2ELNS1_11target_archE906ELNS1_3gpuE6ELNS1_3repE0EEENS1_30default_config_static_selectorELNS0_4arch9wavefront6targetE1EEEvSM_.num_named_barrier, 0
	.set _ZN7rocprim17ROCPRIM_400000_NS6detail17trampoline_kernelINS0_14default_configENS1_22reduce_config_selectorIfEEZNS1_11reduce_implILb1ES3_N6thrust23THRUST_200600_302600_NS11hip_rocprim26transform_input_iterator_tIfNS8_17counting_iteratorIiNS8_11use_defaultESC_SC_EE11estimate_piEEPffNS8_4plusIfEEEE10hipError_tPvRmT1_T2_T3_mT4_P12ihipStream_tbEUlT_E1_NS1_11comp_targetILNS1_3genE2ELNS1_11target_archE906ELNS1_3gpuE6ELNS1_3repE0EEENS1_30default_config_static_selectorELNS0_4arch9wavefront6targetE1EEEvSM_.private_seg_size, 0
	.set _ZN7rocprim17ROCPRIM_400000_NS6detail17trampoline_kernelINS0_14default_configENS1_22reduce_config_selectorIfEEZNS1_11reduce_implILb1ES3_N6thrust23THRUST_200600_302600_NS11hip_rocprim26transform_input_iterator_tIfNS8_17counting_iteratorIiNS8_11use_defaultESC_SC_EE11estimate_piEEPffNS8_4plusIfEEEE10hipError_tPvRmT1_T2_T3_mT4_P12ihipStream_tbEUlT_E1_NS1_11comp_targetILNS1_3genE2ELNS1_11target_archE906ELNS1_3gpuE6ELNS1_3repE0EEENS1_30default_config_static_selectorELNS0_4arch9wavefront6targetE1EEEvSM_.uses_vcc, 1
	.set _ZN7rocprim17ROCPRIM_400000_NS6detail17trampoline_kernelINS0_14default_configENS1_22reduce_config_selectorIfEEZNS1_11reduce_implILb1ES3_N6thrust23THRUST_200600_302600_NS11hip_rocprim26transform_input_iterator_tIfNS8_17counting_iteratorIiNS8_11use_defaultESC_SC_EE11estimate_piEEPffNS8_4plusIfEEEE10hipError_tPvRmT1_T2_T3_mT4_P12ihipStream_tbEUlT_E1_NS1_11comp_targetILNS1_3genE2ELNS1_11target_archE906ELNS1_3gpuE6ELNS1_3repE0EEENS1_30default_config_static_selectorELNS0_4arch9wavefront6targetE1EEEvSM_.uses_flat_scratch, 0
	.set _ZN7rocprim17ROCPRIM_400000_NS6detail17trampoline_kernelINS0_14default_configENS1_22reduce_config_selectorIfEEZNS1_11reduce_implILb1ES3_N6thrust23THRUST_200600_302600_NS11hip_rocprim26transform_input_iterator_tIfNS8_17counting_iteratorIiNS8_11use_defaultESC_SC_EE11estimate_piEEPffNS8_4plusIfEEEE10hipError_tPvRmT1_T2_T3_mT4_P12ihipStream_tbEUlT_E1_NS1_11comp_targetILNS1_3genE2ELNS1_11target_archE906ELNS1_3gpuE6ELNS1_3repE0EEENS1_30default_config_static_selectorELNS0_4arch9wavefront6targetE1EEEvSM_.has_dyn_sized_stack, 0
	.set _ZN7rocprim17ROCPRIM_400000_NS6detail17trampoline_kernelINS0_14default_configENS1_22reduce_config_selectorIfEEZNS1_11reduce_implILb1ES3_N6thrust23THRUST_200600_302600_NS11hip_rocprim26transform_input_iterator_tIfNS8_17counting_iteratorIiNS8_11use_defaultESC_SC_EE11estimate_piEEPffNS8_4plusIfEEEE10hipError_tPvRmT1_T2_T3_mT4_P12ihipStream_tbEUlT_E1_NS1_11comp_targetILNS1_3genE2ELNS1_11target_archE906ELNS1_3gpuE6ELNS1_3repE0EEENS1_30default_config_static_selectorELNS0_4arch9wavefront6targetE1EEEvSM_.has_recursion, 0
	.set _ZN7rocprim17ROCPRIM_400000_NS6detail17trampoline_kernelINS0_14default_configENS1_22reduce_config_selectorIfEEZNS1_11reduce_implILb1ES3_N6thrust23THRUST_200600_302600_NS11hip_rocprim26transform_input_iterator_tIfNS8_17counting_iteratorIiNS8_11use_defaultESC_SC_EE11estimate_piEEPffNS8_4plusIfEEEE10hipError_tPvRmT1_T2_T3_mT4_P12ihipStream_tbEUlT_E1_NS1_11comp_targetILNS1_3genE2ELNS1_11target_archE906ELNS1_3gpuE6ELNS1_3repE0EEENS1_30default_config_static_selectorELNS0_4arch9wavefront6targetE1EEEvSM_.has_indirect_call, 0
	.section	.AMDGPU.csdata,"",@progbits
; Kernel info:
; codeLenInByte = 114328
; TotalNumSgprs: 89
; NumVgprs: 40
; ScratchSize: 0
; MemoryBound: 0
; FloatMode: 240
; IeeeMode: 1
; LDSByteSize: 112 bytes/workgroup (compile time only)
; SGPRBlocks: 11
; VGPRBlocks: 9
; NumSGPRsForWavesPerEU: 89
; NumVGPRsForWavesPerEU: 40
; Occupancy: 6
; WaveLimiterHint : 0
; COMPUTE_PGM_RSRC2:SCRATCH_EN: 0
; COMPUTE_PGM_RSRC2:USER_SGPR: 6
; COMPUTE_PGM_RSRC2:TRAP_HANDLER: 0
; COMPUTE_PGM_RSRC2:TGID_X_EN: 1
; COMPUTE_PGM_RSRC2:TGID_Y_EN: 0
; COMPUTE_PGM_RSRC2:TGID_Z_EN: 0
; COMPUTE_PGM_RSRC2:TIDIG_COMP_CNT: 0
	.section	.text._ZN7rocprim17ROCPRIM_400000_NS6detail17trampoline_kernelINS0_14default_configENS1_22reduce_config_selectorIfEEZNS1_11reduce_implILb1ES3_N6thrust23THRUST_200600_302600_NS11hip_rocprim26transform_input_iterator_tIfNS8_17counting_iteratorIiNS8_11use_defaultESC_SC_EE11estimate_piEEPffNS8_4plusIfEEEE10hipError_tPvRmT1_T2_T3_mT4_P12ihipStream_tbEUlT_E1_NS1_11comp_targetILNS1_3genE10ELNS1_11target_archE1201ELNS1_3gpuE5ELNS1_3repE0EEENS1_30default_config_static_selectorELNS0_4arch9wavefront6targetE1EEEvSM_,"axG",@progbits,_ZN7rocprim17ROCPRIM_400000_NS6detail17trampoline_kernelINS0_14default_configENS1_22reduce_config_selectorIfEEZNS1_11reduce_implILb1ES3_N6thrust23THRUST_200600_302600_NS11hip_rocprim26transform_input_iterator_tIfNS8_17counting_iteratorIiNS8_11use_defaultESC_SC_EE11estimate_piEEPffNS8_4plusIfEEEE10hipError_tPvRmT1_T2_T3_mT4_P12ihipStream_tbEUlT_E1_NS1_11comp_targetILNS1_3genE10ELNS1_11target_archE1201ELNS1_3gpuE5ELNS1_3repE0EEENS1_30default_config_static_selectorELNS0_4arch9wavefront6targetE1EEEvSM_,comdat
	.protected	_ZN7rocprim17ROCPRIM_400000_NS6detail17trampoline_kernelINS0_14default_configENS1_22reduce_config_selectorIfEEZNS1_11reduce_implILb1ES3_N6thrust23THRUST_200600_302600_NS11hip_rocprim26transform_input_iterator_tIfNS8_17counting_iteratorIiNS8_11use_defaultESC_SC_EE11estimate_piEEPffNS8_4plusIfEEEE10hipError_tPvRmT1_T2_T3_mT4_P12ihipStream_tbEUlT_E1_NS1_11comp_targetILNS1_3genE10ELNS1_11target_archE1201ELNS1_3gpuE5ELNS1_3repE0EEENS1_30default_config_static_selectorELNS0_4arch9wavefront6targetE1EEEvSM_ ; -- Begin function _ZN7rocprim17ROCPRIM_400000_NS6detail17trampoline_kernelINS0_14default_configENS1_22reduce_config_selectorIfEEZNS1_11reduce_implILb1ES3_N6thrust23THRUST_200600_302600_NS11hip_rocprim26transform_input_iterator_tIfNS8_17counting_iteratorIiNS8_11use_defaultESC_SC_EE11estimate_piEEPffNS8_4plusIfEEEE10hipError_tPvRmT1_T2_T3_mT4_P12ihipStream_tbEUlT_E1_NS1_11comp_targetILNS1_3genE10ELNS1_11target_archE1201ELNS1_3gpuE5ELNS1_3repE0EEENS1_30default_config_static_selectorELNS0_4arch9wavefront6targetE1EEEvSM_
	.globl	_ZN7rocprim17ROCPRIM_400000_NS6detail17trampoline_kernelINS0_14default_configENS1_22reduce_config_selectorIfEEZNS1_11reduce_implILb1ES3_N6thrust23THRUST_200600_302600_NS11hip_rocprim26transform_input_iterator_tIfNS8_17counting_iteratorIiNS8_11use_defaultESC_SC_EE11estimate_piEEPffNS8_4plusIfEEEE10hipError_tPvRmT1_T2_T3_mT4_P12ihipStream_tbEUlT_E1_NS1_11comp_targetILNS1_3genE10ELNS1_11target_archE1201ELNS1_3gpuE5ELNS1_3repE0EEENS1_30default_config_static_selectorELNS0_4arch9wavefront6targetE1EEEvSM_
	.p2align	8
	.type	_ZN7rocprim17ROCPRIM_400000_NS6detail17trampoline_kernelINS0_14default_configENS1_22reduce_config_selectorIfEEZNS1_11reduce_implILb1ES3_N6thrust23THRUST_200600_302600_NS11hip_rocprim26transform_input_iterator_tIfNS8_17counting_iteratorIiNS8_11use_defaultESC_SC_EE11estimate_piEEPffNS8_4plusIfEEEE10hipError_tPvRmT1_T2_T3_mT4_P12ihipStream_tbEUlT_E1_NS1_11comp_targetILNS1_3genE10ELNS1_11target_archE1201ELNS1_3gpuE5ELNS1_3repE0EEENS1_30default_config_static_selectorELNS0_4arch9wavefront6targetE1EEEvSM_,@function
_ZN7rocprim17ROCPRIM_400000_NS6detail17trampoline_kernelINS0_14default_configENS1_22reduce_config_selectorIfEEZNS1_11reduce_implILb1ES3_N6thrust23THRUST_200600_302600_NS11hip_rocprim26transform_input_iterator_tIfNS8_17counting_iteratorIiNS8_11use_defaultESC_SC_EE11estimate_piEEPffNS8_4plusIfEEEE10hipError_tPvRmT1_T2_T3_mT4_P12ihipStream_tbEUlT_E1_NS1_11comp_targetILNS1_3genE10ELNS1_11target_archE1201ELNS1_3gpuE5ELNS1_3repE0EEENS1_30default_config_static_selectorELNS0_4arch9wavefront6targetE1EEEvSM_: ; @_ZN7rocprim17ROCPRIM_400000_NS6detail17trampoline_kernelINS0_14default_configENS1_22reduce_config_selectorIfEEZNS1_11reduce_implILb1ES3_N6thrust23THRUST_200600_302600_NS11hip_rocprim26transform_input_iterator_tIfNS8_17counting_iteratorIiNS8_11use_defaultESC_SC_EE11estimate_piEEPffNS8_4plusIfEEEE10hipError_tPvRmT1_T2_T3_mT4_P12ihipStream_tbEUlT_E1_NS1_11comp_targetILNS1_3genE10ELNS1_11target_archE1201ELNS1_3gpuE5ELNS1_3repE0EEENS1_30default_config_static_selectorELNS0_4arch9wavefront6targetE1EEEvSM_
; %bb.0:
	.section	.rodata,"a",@progbits
	.p2align	6, 0x0
	.amdhsa_kernel _ZN7rocprim17ROCPRIM_400000_NS6detail17trampoline_kernelINS0_14default_configENS1_22reduce_config_selectorIfEEZNS1_11reduce_implILb1ES3_N6thrust23THRUST_200600_302600_NS11hip_rocprim26transform_input_iterator_tIfNS8_17counting_iteratorIiNS8_11use_defaultESC_SC_EE11estimate_piEEPffNS8_4plusIfEEEE10hipError_tPvRmT1_T2_T3_mT4_P12ihipStream_tbEUlT_E1_NS1_11comp_targetILNS1_3genE10ELNS1_11target_archE1201ELNS1_3gpuE5ELNS1_3repE0EEENS1_30default_config_static_selectorELNS0_4arch9wavefront6targetE1EEEvSM_
		.amdhsa_group_segment_fixed_size 0
		.amdhsa_private_segment_fixed_size 0
		.amdhsa_kernarg_size 40
		.amdhsa_user_sgpr_count 6
		.amdhsa_user_sgpr_private_segment_buffer 1
		.amdhsa_user_sgpr_dispatch_ptr 0
		.amdhsa_user_sgpr_queue_ptr 0
		.amdhsa_user_sgpr_kernarg_segment_ptr 1
		.amdhsa_user_sgpr_dispatch_id 0
		.amdhsa_user_sgpr_flat_scratch_init 0
		.amdhsa_user_sgpr_private_segment_size 0
		.amdhsa_uses_dynamic_stack 0
		.amdhsa_system_sgpr_private_segment_wavefront_offset 0
		.amdhsa_system_sgpr_workgroup_id_x 1
		.amdhsa_system_sgpr_workgroup_id_y 0
		.amdhsa_system_sgpr_workgroup_id_z 0
		.amdhsa_system_sgpr_workgroup_info 0
		.amdhsa_system_vgpr_workitem_id 0
		.amdhsa_next_free_vgpr 1
		.amdhsa_next_free_sgpr 0
		.amdhsa_reserve_vcc 0
		.amdhsa_reserve_flat_scratch 0
		.amdhsa_float_round_mode_32 0
		.amdhsa_float_round_mode_16_64 0
		.amdhsa_float_denorm_mode_32 3
		.amdhsa_float_denorm_mode_16_64 3
		.amdhsa_dx10_clamp 1
		.amdhsa_ieee_mode 1
		.amdhsa_fp16_overflow 0
		.amdhsa_exception_fp_ieee_invalid_op 0
		.amdhsa_exception_fp_denorm_src 0
		.amdhsa_exception_fp_ieee_div_zero 0
		.amdhsa_exception_fp_ieee_overflow 0
		.amdhsa_exception_fp_ieee_underflow 0
		.amdhsa_exception_fp_ieee_inexact 0
		.amdhsa_exception_int_div_zero 0
	.end_amdhsa_kernel
	.section	.text._ZN7rocprim17ROCPRIM_400000_NS6detail17trampoline_kernelINS0_14default_configENS1_22reduce_config_selectorIfEEZNS1_11reduce_implILb1ES3_N6thrust23THRUST_200600_302600_NS11hip_rocprim26transform_input_iterator_tIfNS8_17counting_iteratorIiNS8_11use_defaultESC_SC_EE11estimate_piEEPffNS8_4plusIfEEEE10hipError_tPvRmT1_T2_T3_mT4_P12ihipStream_tbEUlT_E1_NS1_11comp_targetILNS1_3genE10ELNS1_11target_archE1201ELNS1_3gpuE5ELNS1_3repE0EEENS1_30default_config_static_selectorELNS0_4arch9wavefront6targetE1EEEvSM_,"axG",@progbits,_ZN7rocprim17ROCPRIM_400000_NS6detail17trampoline_kernelINS0_14default_configENS1_22reduce_config_selectorIfEEZNS1_11reduce_implILb1ES3_N6thrust23THRUST_200600_302600_NS11hip_rocprim26transform_input_iterator_tIfNS8_17counting_iteratorIiNS8_11use_defaultESC_SC_EE11estimate_piEEPffNS8_4plusIfEEEE10hipError_tPvRmT1_T2_T3_mT4_P12ihipStream_tbEUlT_E1_NS1_11comp_targetILNS1_3genE10ELNS1_11target_archE1201ELNS1_3gpuE5ELNS1_3repE0EEENS1_30default_config_static_selectorELNS0_4arch9wavefront6targetE1EEEvSM_,comdat
.Lfunc_end32:
	.size	_ZN7rocprim17ROCPRIM_400000_NS6detail17trampoline_kernelINS0_14default_configENS1_22reduce_config_selectorIfEEZNS1_11reduce_implILb1ES3_N6thrust23THRUST_200600_302600_NS11hip_rocprim26transform_input_iterator_tIfNS8_17counting_iteratorIiNS8_11use_defaultESC_SC_EE11estimate_piEEPffNS8_4plusIfEEEE10hipError_tPvRmT1_T2_T3_mT4_P12ihipStream_tbEUlT_E1_NS1_11comp_targetILNS1_3genE10ELNS1_11target_archE1201ELNS1_3gpuE5ELNS1_3repE0EEENS1_30default_config_static_selectorELNS0_4arch9wavefront6targetE1EEEvSM_, .Lfunc_end32-_ZN7rocprim17ROCPRIM_400000_NS6detail17trampoline_kernelINS0_14default_configENS1_22reduce_config_selectorIfEEZNS1_11reduce_implILb1ES3_N6thrust23THRUST_200600_302600_NS11hip_rocprim26transform_input_iterator_tIfNS8_17counting_iteratorIiNS8_11use_defaultESC_SC_EE11estimate_piEEPffNS8_4plusIfEEEE10hipError_tPvRmT1_T2_T3_mT4_P12ihipStream_tbEUlT_E1_NS1_11comp_targetILNS1_3genE10ELNS1_11target_archE1201ELNS1_3gpuE5ELNS1_3repE0EEENS1_30default_config_static_selectorELNS0_4arch9wavefront6targetE1EEEvSM_
                                        ; -- End function
	.set _ZN7rocprim17ROCPRIM_400000_NS6detail17trampoline_kernelINS0_14default_configENS1_22reduce_config_selectorIfEEZNS1_11reduce_implILb1ES3_N6thrust23THRUST_200600_302600_NS11hip_rocprim26transform_input_iterator_tIfNS8_17counting_iteratorIiNS8_11use_defaultESC_SC_EE11estimate_piEEPffNS8_4plusIfEEEE10hipError_tPvRmT1_T2_T3_mT4_P12ihipStream_tbEUlT_E1_NS1_11comp_targetILNS1_3genE10ELNS1_11target_archE1201ELNS1_3gpuE5ELNS1_3repE0EEENS1_30default_config_static_selectorELNS0_4arch9wavefront6targetE1EEEvSM_.num_vgpr, 0
	.set _ZN7rocprim17ROCPRIM_400000_NS6detail17trampoline_kernelINS0_14default_configENS1_22reduce_config_selectorIfEEZNS1_11reduce_implILb1ES3_N6thrust23THRUST_200600_302600_NS11hip_rocprim26transform_input_iterator_tIfNS8_17counting_iteratorIiNS8_11use_defaultESC_SC_EE11estimate_piEEPffNS8_4plusIfEEEE10hipError_tPvRmT1_T2_T3_mT4_P12ihipStream_tbEUlT_E1_NS1_11comp_targetILNS1_3genE10ELNS1_11target_archE1201ELNS1_3gpuE5ELNS1_3repE0EEENS1_30default_config_static_selectorELNS0_4arch9wavefront6targetE1EEEvSM_.num_agpr, 0
	.set _ZN7rocprim17ROCPRIM_400000_NS6detail17trampoline_kernelINS0_14default_configENS1_22reduce_config_selectorIfEEZNS1_11reduce_implILb1ES3_N6thrust23THRUST_200600_302600_NS11hip_rocprim26transform_input_iterator_tIfNS8_17counting_iteratorIiNS8_11use_defaultESC_SC_EE11estimate_piEEPffNS8_4plusIfEEEE10hipError_tPvRmT1_T2_T3_mT4_P12ihipStream_tbEUlT_E1_NS1_11comp_targetILNS1_3genE10ELNS1_11target_archE1201ELNS1_3gpuE5ELNS1_3repE0EEENS1_30default_config_static_selectorELNS0_4arch9wavefront6targetE1EEEvSM_.numbered_sgpr, 0
	.set _ZN7rocprim17ROCPRIM_400000_NS6detail17trampoline_kernelINS0_14default_configENS1_22reduce_config_selectorIfEEZNS1_11reduce_implILb1ES3_N6thrust23THRUST_200600_302600_NS11hip_rocprim26transform_input_iterator_tIfNS8_17counting_iteratorIiNS8_11use_defaultESC_SC_EE11estimate_piEEPffNS8_4plusIfEEEE10hipError_tPvRmT1_T2_T3_mT4_P12ihipStream_tbEUlT_E1_NS1_11comp_targetILNS1_3genE10ELNS1_11target_archE1201ELNS1_3gpuE5ELNS1_3repE0EEENS1_30default_config_static_selectorELNS0_4arch9wavefront6targetE1EEEvSM_.num_named_barrier, 0
	.set _ZN7rocprim17ROCPRIM_400000_NS6detail17trampoline_kernelINS0_14default_configENS1_22reduce_config_selectorIfEEZNS1_11reduce_implILb1ES3_N6thrust23THRUST_200600_302600_NS11hip_rocprim26transform_input_iterator_tIfNS8_17counting_iteratorIiNS8_11use_defaultESC_SC_EE11estimate_piEEPffNS8_4plusIfEEEE10hipError_tPvRmT1_T2_T3_mT4_P12ihipStream_tbEUlT_E1_NS1_11comp_targetILNS1_3genE10ELNS1_11target_archE1201ELNS1_3gpuE5ELNS1_3repE0EEENS1_30default_config_static_selectorELNS0_4arch9wavefront6targetE1EEEvSM_.private_seg_size, 0
	.set _ZN7rocprim17ROCPRIM_400000_NS6detail17trampoline_kernelINS0_14default_configENS1_22reduce_config_selectorIfEEZNS1_11reduce_implILb1ES3_N6thrust23THRUST_200600_302600_NS11hip_rocprim26transform_input_iterator_tIfNS8_17counting_iteratorIiNS8_11use_defaultESC_SC_EE11estimate_piEEPffNS8_4plusIfEEEE10hipError_tPvRmT1_T2_T3_mT4_P12ihipStream_tbEUlT_E1_NS1_11comp_targetILNS1_3genE10ELNS1_11target_archE1201ELNS1_3gpuE5ELNS1_3repE0EEENS1_30default_config_static_selectorELNS0_4arch9wavefront6targetE1EEEvSM_.uses_vcc, 0
	.set _ZN7rocprim17ROCPRIM_400000_NS6detail17trampoline_kernelINS0_14default_configENS1_22reduce_config_selectorIfEEZNS1_11reduce_implILb1ES3_N6thrust23THRUST_200600_302600_NS11hip_rocprim26transform_input_iterator_tIfNS8_17counting_iteratorIiNS8_11use_defaultESC_SC_EE11estimate_piEEPffNS8_4plusIfEEEE10hipError_tPvRmT1_T2_T3_mT4_P12ihipStream_tbEUlT_E1_NS1_11comp_targetILNS1_3genE10ELNS1_11target_archE1201ELNS1_3gpuE5ELNS1_3repE0EEENS1_30default_config_static_selectorELNS0_4arch9wavefront6targetE1EEEvSM_.uses_flat_scratch, 0
	.set _ZN7rocprim17ROCPRIM_400000_NS6detail17trampoline_kernelINS0_14default_configENS1_22reduce_config_selectorIfEEZNS1_11reduce_implILb1ES3_N6thrust23THRUST_200600_302600_NS11hip_rocprim26transform_input_iterator_tIfNS8_17counting_iteratorIiNS8_11use_defaultESC_SC_EE11estimate_piEEPffNS8_4plusIfEEEE10hipError_tPvRmT1_T2_T3_mT4_P12ihipStream_tbEUlT_E1_NS1_11comp_targetILNS1_3genE10ELNS1_11target_archE1201ELNS1_3gpuE5ELNS1_3repE0EEENS1_30default_config_static_selectorELNS0_4arch9wavefront6targetE1EEEvSM_.has_dyn_sized_stack, 0
	.set _ZN7rocprim17ROCPRIM_400000_NS6detail17trampoline_kernelINS0_14default_configENS1_22reduce_config_selectorIfEEZNS1_11reduce_implILb1ES3_N6thrust23THRUST_200600_302600_NS11hip_rocprim26transform_input_iterator_tIfNS8_17counting_iteratorIiNS8_11use_defaultESC_SC_EE11estimate_piEEPffNS8_4plusIfEEEE10hipError_tPvRmT1_T2_T3_mT4_P12ihipStream_tbEUlT_E1_NS1_11comp_targetILNS1_3genE10ELNS1_11target_archE1201ELNS1_3gpuE5ELNS1_3repE0EEENS1_30default_config_static_selectorELNS0_4arch9wavefront6targetE1EEEvSM_.has_recursion, 0
	.set _ZN7rocprim17ROCPRIM_400000_NS6detail17trampoline_kernelINS0_14default_configENS1_22reduce_config_selectorIfEEZNS1_11reduce_implILb1ES3_N6thrust23THRUST_200600_302600_NS11hip_rocprim26transform_input_iterator_tIfNS8_17counting_iteratorIiNS8_11use_defaultESC_SC_EE11estimate_piEEPffNS8_4plusIfEEEE10hipError_tPvRmT1_T2_T3_mT4_P12ihipStream_tbEUlT_E1_NS1_11comp_targetILNS1_3genE10ELNS1_11target_archE1201ELNS1_3gpuE5ELNS1_3repE0EEENS1_30default_config_static_selectorELNS0_4arch9wavefront6targetE1EEEvSM_.has_indirect_call, 0
	.section	.AMDGPU.csdata,"",@progbits
; Kernel info:
; codeLenInByte = 0
; TotalNumSgprs: 4
; NumVgprs: 0
; ScratchSize: 0
; MemoryBound: 0
; FloatMode: 240
; IeeeMode: 1
; LDSByteSize: 0 bytes/workgroup (compile time only)
; SGPRBlocks: 0
; VGPRBlocks: 0
; NumSGPRsForWavesPerEU: 4
; NumVGPRsForWavesPerEU: 1
; Occupancy: 10
; WaveLimiterHint : 0
; COMPUTE_PGM_RSRC2:SCRATCH_EN: 0
; COMPUTE_PGM_RSRC2:USER_SGPR: 6
; COMPUTE_PGM_RSRC2:TRAP_HANDLER: 0
; COMPUTE_PGM_RSRC2:TGID_X_EN: 1
; COMPUTE_PGM_RSRC2:TGID_Y_EN: 0
; COMPUTE_PGM_RSRC2:TGID_Z_EN: 0
; COMPUTE_PGM_RSRC2:TIDIG_COMP_CNT: 0
	.section	.text._ZN7rocprim17ROCPRIM_400000_NS6detail17trampoline_kernelINS0_14default_configENS1_22reduce_config_selectorIfEEZNS1_11reduce_implILb1ES3_N6thrust23THRUST_200600_302600_NS11hip_rocprim26transform_input_iterator_tIfNS8_17counting_iteratorIiNS8_11use_defaultESC_SC_EE11estimate_piEEPffNS8_4plusIfEEEE10hipError_tPvRmT1_T2_T3_mT4_P12ihipStream_tbEUlT_E1_NS1_11comp_targetILNS1_3genE10ELNS1_11target_archE1200ELNS1_3gpuE4ELNS1_3repE0EEENS1_30default_config_static_selectorELNS0_4arch9wavefront6targetE1EEEvSM_,"axG",@progbits,_ZN7rocprim17ROCPRIM_400000_NS6detail17trampoline_kernelINS0_14default_configENS1_22reduce_config_selectorIfEEZNS1_11reduce_implILb1ES3_N6thrust23THRUST_200600_302600_NS11hip_rocprim26transform_input_iterator_tIfNS8_17counting_iteratorIiNS8_11use_defaultESC_SC_EE11estimate_piEEPffNS8_4plusIfEEEE10hipError_tPvRmT1_T2_T3_mT4_P12ihipStream_tbEUlT_E1_NS1_11comp_targetILNS1_3genE10ELNS1_11target_archE1200ELNS1_3gpuE4ELNS1_3repE0EEENS1_30default_config_static_selectorELNS0_4arch9wavefront6targetE1EEEvSM_,comdat
	.protected	_ZN7rocprim17ROCPRIM_400000_NS6detail17trampoline_kernelINS0_14default_configENS1_22reduce_config_selectorIfEEZNS1_11reduce_implILb1ES3_N6thrust23THRUST_200600_302600_NS11hip_rocprim26transform_input_iterator_tIfNS8_17counting_iteratorIiNS8_11use_defaultESC_SC_EE11estimate_piEEPffNS8_4plusIfEEEE10hipError_tPvRmT1_T2_T3_mT4_P12ihipStream_tbEUlT_E1_NS1_11comp_targetILNS1_3genE10ELNS1_11target_archE1200ELNS1_3gpuE4ELNS1_3repE0EEENS1_30default_config_static_selectorELNS0_4arch9wavefront6targetE1EEEvSM_ ; -- Begin function _ZN7rocprim17ROCPRIM_400000_NS6detail17trampoline_kernelINS0_14default_configENS1_22reduce_config_selectorIfEEZNS1_11reduce_implILb1ES3_N6thrust23THRUST_200600_302600_NS11hip_rocprim26transform_input_iterator_tIfNS8_17counting_iteratorIiNS8_11use_defaultESC_SC_EE11estimate_piEEPffNS8_4plusIfEEEE10hipError_tPvRmT1_T2_T3_mT4_P12ihipStream_tbEUlT_E1_NS1_11comp_targetILNS1_3genE10ELNS1_11target_archE1200ELNS1_3gpuE4ELNS1_3repE0EEENS1_30default_config_static_selectorELNS0_4arch9wavefront6targetE1EEEvSM_
	.globl	_ZN7rocprim17ROCPRIM_400000_NS6detail17trampoline_kernelINS0_14default_configENS1_22reduce_config_selectorIfEEZNS1_11reduce_implILb1ES3_N6thrust23THRUST_200600_302600_NS11hip_rocprim26transform_input_iterator_tIfNS8_17counting_iteratorIiNS8_11use_defaultESC_SC_EE11estimate_piEEPffNS8_4plusIfEEEE10hipError_tPvRmT1_T2_T3_mT4_P12ihipStream_tbEUlT_E1_NS1_11comp_targetILNS1_3genE10ELNS1_11target_archE1200ELNS1_3gpuE4ELNS1_3repE0EEENS1_30default_config_static_selectorELNS0_4arch9wavefront6targetE1EEEvSM_
	.p2align	8
	.type	_ZN7rocprim17ROCPRIM_400000_NS6detail17trampoline_kernelINS0_14default_configENS1_22reduce_config_selectorIfEEZNS1_11reduce_implILb1ES3_N6thrust23THRUST_200600_302600_NS11hip_rocprim26transform_input_iterator_tIfNS8_17counting_iteratorIiNS8_11use_defaultESC_SC_EE11estimate_piEEPffNS8_4plusIfEEEE10hipError_tPvRmT1_T2_T3_mT4_P12ihipStream_tbEUlT_E1_NS1_11comp_targetILNS1_3genE10ELNS1_11target_archE1200ELNS1_3gpuE4ELNS1_3repE0EEENS1_30default_config_static_selectorELNS0_4arch9wavefront6targetE1EEEvSM_,@function
_ZN7rocprim17ROCPRIM_400000_NS6detail17trampoline_kernelINS0_14default_configENS1_22reduce_config_selectorIfEEZNS1_11reduce_implILb1ES3_N6thrust23THRUST_200600_302600_NS11hip_rocprim26transform_input_iterator_tIfNS8_17counting_iteratorIiNS8_11use_defaultESC_SC_EE11estimate_piEEPffNS8_4plusIfEEEE10hipError_tPvRmT1_T2_T3_mT4_P12ihipStream_tbEUlT_E1_NS1_11comp_targetILNS1_3genE10ELNS1_11target_archE1200ELNS1_3gpuE4ELNS1_3repE0EEENS1_30default_config_static_selectorELNS0_4arch9wavefront6targetE1EEEvSM_: ; @_ZN7rocprim17ROCPRIM_400000_NS6detail17trampoline_kernelINS0_14default_configENS1_22reduce_config_selectorIfEEZNS1_11reduce_implILb1ES3_N6thrust23THRUST_200600_302600_NS11hip_rocprim26transform_input_iterator_tIfNS8_17counting_iteratorIiNS8_11use_defaultESC_SC_EE11estimate_piEEPffNS8_4plusIfEEEE10hipError_tPvRmT1_T2_T3_mT4_P12ihipStream_tbEUlT_E1_NS1_11comp_targetILNS1_3genE10ELNS1_11target_archE1200ELNS1_3gpuE4ELNS1_3repE0EEENS1_30default_config_static_selectorELNS0_4arch9wavefront6targetE1EEEvSM_
; %bb.0:
	.section	.rodata,"a",@progbits
	.p2align	6, 0x0
	.amdhsa_kernel _ZN7rocprim17ROCPRIM_400000_NS6detail17trampoline_kernelINS0_14default_configENS1_22reduce_config_selectorIfEEZNS1_11reduce_implILb1ES3_N6thrust23THRUST_200600_302600_NS11hip_rocprim26transform_input_iterator_tIfNS8_17counting_iteratorIiNS8_11use_defaultESC_SC_EE11estimate_piEEPffNS8_4plusIfEEEE10hipError_tPvRmT1_T2_T3_mT4_P12ihipStream_tbEUlT_E1_NS1_11comp_targetILNS1_3genE10ELNS1_11target_archE1200ELNS1_3gpuE4ELNS1_3repE0EEENS1_30default_config_static_selectorELNS0_4arch9wavefront6targetE1EEEvSM_
		.amdhsa_group_segment_fixed_size 0
		.amdhsa_private_segment_fixed_size 0
		.amdhsa_kernarg_size 40
		.amdhsa_user_sgpr_count 6
		.amdhsa_user_sgpr_private_segment_buffer 1
		.amdhsa_user_sgpr_dispatch_ptr 0
		.amdhsa_user_sgpr_queue_ptr 0
		.amdhsa_user_sgpr_kernarg_segment_ptr 1
		.amdhsa_user_sgpr_dispatch_id 0
		.amdhsa_user_sgpr_flat_scratch_init 0
		.amdhsa_user_sgpr_private_segment_size 0
		.amdhsa_uses_dynamic_stack 0
		.amdhsa_system_sgpr_private_segment_wavefront_offset 0
		.amdhsa_system_sgpr_workgroup_id_x 1
		.amdhsa_system_sgpr_workgroup_id_y 0
		.amdhsa_system_sgpr_workgroup_id_z 0
		.amdhsa_system_sgpr_workgroup_info 0
		.amdhsa_system_vgpr_workitem_id 0
		.amdhsa_next_free_vgpr 1
		.amdhsa_next_free_sgpr 0
		.amdhsa_reserve_vcc 0
		.amdhsa_reserve_flat_scratch 0
		.amdhsa_float_round_mode_32 0
		.amdhsa_float_round_mode_16_64 0
		.amdhsa_float_denorm_mode_32 3
		.amdhsa_float_denorm_mode_16_64 3
		.amdhsa_dx10_clamp 1
		.amdhsa_ieee_mode 1
		.amdhsa_fp16_overflow 0
		.amdhsa_exception_fp_ieee_invalid_op 0
		.amdhsa_exception_fp_denorm_src 0
		.amdhsa_exception_fp_ieee_div_zero 0
		.amdhsa_exception_fp_ieee_overflow 0
		.amdhsa_exception_fp_ieee_underflow 0
		.amdhsa_exception_fp_ieee_inexact 0
		.amdhsa_exception_int_div_zero 0
	.end_amdhsa_kernel
	.section	.text._ZN7rocprim17ROCPRIM_400000_NS6detail17trampoline_kernelINS0_14default_configENS1_22reduce_config_selectorIfEEZNS1_11reduce_implILb1ES3_N6thrust23THRUST_200600_302600_NS11hip_rocprim26transform_input_iterator_tIfNS8_17counting_iteratorIiNS8_11use_defaultESC_SC_EE11estimate_piEEPffNS8_4plusIfEEEE10hipError_tPvRmT1_T2_T3_mT4_P12ihipStream_tbEUlT_E1_NS1_11comp_targetILNS1_3genE10ELNS1_11target_archE1200ELNS1_3gpuE4ELNS1_3repE0EEENS1_30default_config_static_selectorELNS0_4arch9wavefront6targetE1EEEvSM_,"axG",@progbits,_ZN7rocprim17ROCPRIM_400000_NS6detail17trampoline_kernelINS0_14default_configENS1_22reduce_config_selectorIfEEZNS1_11reduce_implILb1ES3_N6thrust23THRUST_200600_302600_NS11hip_rocprim26transform_input_iterator_tIfNS8_17counting_iteratorIiNS8_11use_defaultESC_SC_EE11estimate_piEEPffNS8_4plusIfEEEE10hipError_tPvRmT1_T2_T3_mT4_P12ihipStream_tbEUlT_E1_NS1_11comp_targetILNS1_3genE10ELNS1_11target_archE1200ELNS1_3gpuE4ELNS1_3repE0EEENS1_30default_config_static_selectorELNS0_4arch9wavefront6targetE1EEEvSM_,comdat
.Lfunc_end33:
	.size	_ZN7rocprim17ROCPRIM_400000_NS6detail17trampoline_kernelINS0_14default_configENS1_22reduce_config_selectorIfEEZNS1_11reduce_implILb1ES3_N6thrust23THRUST_200600_302600_NS11hip_rocprim26transform_input_iterator_tIfNS8_17counting_iteratorIiNS8_11use_defaultESC_SC_EE11estimate_piEEPffNS8_4plusIfEEEE10hipError_tPvRmT1_T2_T3_mT4_P12ihipStream_tbEUlT_E1_NS1_11comp_targetILNS1_3genE10ELNS1_11target_archE1200ELNS1_3gpuE4ELNS1_3repE0EEENS1_30default_config_static_selectorELNS0_4arch9wavefront6targetE1EEEvSM_, .Lfunc_end33-_ZN7rocprim17ROCPRIM_400000_NS6detail17trampoline_kernelINS0_14default_configENS1_22reduce_config_selectorIfEEZNS1_11reduce_implILb1ES3_N6thrust23THRUST_200600_302600_NS11hip_rocprim26transform_input_iterator_tIfNS8_17counting_iteratorIiNS8_11use_defaultESC_SC_EE11estimate_piEEPffNS8_4plusIfEEEE10hipError_tPvRmT1_T2_T3_mT4_P12ihipStream_tbEUlT_E1_NS1_11comp_targetILNS1_3genE10ELNS1_11target_archE1200ELNS1_3gpuE4ELNS1_3repE0EEENS1_30default_config_static_selectorELNS0_4arch9wavefront6targetE1EEEvSM_
                                        ; -- End function
	.set _ZN7rocprim17ROCPRIM_400000_NS6detail17trampoline_kernelINS0_14default_configENS1_22reduce_config_selectorIfEEZNS1_11reduce_implILb1ES3_N6thrust23THRUST_200600_302600_NS11hip_rocprim26transform_input_iterator_tIfNS8_17counting_iteratorIiNS8_11use_defaultESC_SC_EE11estimate_piEEPffNS8_4plusIfEEEE10hipError_tPvRmT1_T2_T3_mT4_P12ihipStream_tbEUlT_E1_NS1_11comp_targetILNS1_3genE10ELNS1_11target_archE1200ELNS1_3gpuE4ELNS1_3repE0EEENS1_30default_config_static_selectorELNS0_4arch9wavefront6targetE1EEEvSM_.num_vgpr, 0
	.set _ZN7rocprim17ROCPRIM_400000_NS6detail17trampoline_kernelINS0_14default_configENS1_22reduce_config_selectorIfEEZNS1_11reduce_implILb1ES3_N6thrust23THRUST_200600_302600_NS11hip_rocprim26transform_input_iterator_tIfNS8_17counting_iteratorIiNS8_11use_defaultESC_SC_EE11estimate_piEEPffNS8_4plusIfEEEE10hipError_tPvRmT1_T2_T3_mT4_P12ihipStream_tbEUlT_E1_NS1_11comp_targetILNS1_3genE10ELNS1_11target_archE1200ELNS1_3gpuE4ELNS1_3repE0EEENS1_30default_config_static_selectorELNS0_4arch9wavefront6targetE1EEEvSM_.num_agpr, 0
	.set _ZN7rocprim17ROCPRIM_400000_NS6detail17trampoline_kernelINS0_14default_configENS1_22reduce_config_selectorIfEEZNS1_11reduce_implILb1ES3_N6thrust23THRUST_200600_302600_NS11hip_rocprim26transform_input_iterator_tIfNS8_17counting_iteratorIiNS8_11use_defaultESC_SC_EE11estimate_piEEPffNS8_4plusIfEEEE10hipError_tPvRmT1_T2_T3_mT4_P12ihipStream_tbEUlT_E1_NS1_11comp_targetILNS1_3genE10ELNS1_11target_archE1200ELNS1_3gpuE4ELNS1_3repE0EEENS1_30default_config_static_selectorELNS0_4arch9wavefront6targetE1EEEvSM_.numbered_sgpr, 0
	.set _ZN7rocprim17ROCPRIM_400000_NS6detail17trampoline_kernelINS0_14default_configENS1_22reduce_config_selectorIfEEZNS1_11reduce_implILb1ES3_N6thrust23THRUST_200600_302600_NS11hip_rocprim26transform_input_iterator_tIfNS8_17counting_iteratorIiNS8_11use_defaultESC_SC_EE11estimate_piEEPffNS8_4plusIfEEEE10hipError_tPvRmT1_T2_T3_mT4_P12ihipStream_tbEUlT_E1_NS1_11comp_targetILNS1_3genE10ELNS1_11target_archE1200ELNS1_3gpuE4ELNS1_3repE0EEENS1_30default_config_static_selectorELNS0_4arch9wavefront6targetE1EEEvSM_.num_named_barrier, 0
	.set _ZN7rocprim17ROCPRIM_400000_NS6detail17trampoline_kernelINS0_14default_configENS1_22reduce_config_selectorIfEEZNS1_11reduce_implILb1ES3_N6thrust23THRUST_200600_302600_NS11hip_rocprim26transform_input_iterator_tIfNS8_17counting_iteratorIiNS8_11use_defaultESC_SC_EE11estimate_piEEPffNS8_4plusIfEEEE10hipError_tPvRmT1_T2_T3_mT4_P12ihipStream_tbEUlT_E1_NS1_11comp_targetILNS1_3genE10ELNS1_11target_archE1200ELNS1_3gpuE4ELNS1_3repE0EEENS1_30default_config_static_selectorELNS0_4arch9wavefront6targetE1EEEvSM_.private_seg_size, 0
	.set _ZN7rocprim17ROCPRIM_400000_NS6detail17trampoline_kernelINS0_14default_configENS1_22reduce_config_selectorIfEEZNS1_11reduce_implILb1ES3_N6thrust23THRUST_200600_302600_NS11hip_rocprim26transform_input_iterator_tIfNS8_17counting_iteratorIiNS8_11use_defaultESC_SC_EE11estimate_piEEPffNS8_4plusIfEEEE10hipError_tPvRmT1_T2_T3_mT4_P12ihipStream_tbEUlT_E1_NS1_11comp_targetILNS1_3genE10ELNS1_11target_archE1200ELNS1_3gpuE4ELNS1_3repE0EEENS1_30default_config_static_selectorELNS0_4arch9wavefront6targetE1EEEvSM_.uses_vcc, 0
	.set _ZN7rocprim17ROCPRIM_400000_NS6detail17trampoline_kernelINS0_14default_configENS1_22reduce_config_selectorIfEEZNS1_11reduce_implILb1ES3_N6thrust23THRUST_200600_302600_NS11hip_rocprim26transform_input_iterator_tIfNS8_17counting_iteratorIiNS8_11use_defaultESC_SC_EE11estimate_piEEPffNS8_4plusIfEEEE10hipError_tPvRmT1_T2_T3_mT4_P12ihipStream_tbEUlT_E1_NS1_11comp_targetILNS1_3genE10ELNS1_11target_archE1200ELNS1_3gpuE4ELNS1_3repE0EEENS1_30default_config_static_selectorELNS0_4arch9wavefront6targetE1EEEvSM_.uses_flat_scratch, 0
	.set _ZN7rocprim17ROCPRIM_400000_NS6detail17trampoline_kernelINS0_14default_configENS1_22reduce_config_selectorIfEEZNS1_11reduce_implILb1ES3_N6thrust23THRUST_200600_302600_NS11hip_rocprim26transform_input_iterator_tIfNS8_17counting_iteratorIiNS8_11use_defaultESC_SC_EE11estimate_piEEPffNS8_4plusIfEEEE10hipError_tPvRmT1_T2_T3_mT4_P12ihipStream_tbEUlT_E1_NS1_11comp_targetILNS1_3genE10ELNS1_11target_archE1200ELNS1_3gpuE4ELNS1_3repE0EEENS1_30default_config_static_selectorELNS0_4arch9wavefront6targetE1EEEvSM_.has_dyn_sized_stack, 0
	.set _ZN7rocprim17ROCPRIM_400000_NS6detail17trampoline_kernelINS0_14default_configENS1_22reduce_config_selectorIfEEZNS1_11reduce_implILb1ES3_N6thrust23THRUST_200600_302600_NS11hip_rocprim26transform_input_iterator_tIfNS8_17counting_iteratorIiNS8_11use_defaultESC_SC_EE11estimate_piEEPffNS8_4plusIfEEEE10hipError_tPvRmT1_T2_T3_mT4_P12ihipStream_tbEUlT_E1_NS1_11comp_targetILNS1_3genE10ELNS1_11target_archE1200ELNS1_3gpuE4ELNS1_3repE0EEENS1_30default_config_static_selectorELNS0_4arch9wavefront6targetE1EEEvSM_.has_recursion, 0
	.set _ZN7rocprim17ROCPRIM_400000_NS6detail17trampoline_kernelINS0_14default_configENS1_22reduce_config_selectorIfEEZNS1_11reduce_implILb1ES3_N6thrust23THRUST_200600_302600_NS11hip_rocprim26transform_input_iterator_tIfNS8_17counting_iteratorIiNS8_11use_defaultESC_SC_EE11estimate_piEEPffNS8_4plusIfEEEE10hipError_tPvRmT1_T2_T3_mT4_P12ihipStream_tbEUlT_E1_NS1_11comp_targetILNS1_3genE10ELNS1_11target_archE1200ELNS1_3gpuE4ELNS1_3repE0EEENS1_30default_config_static_selectorELNS0_4arch9wavefront6targetE1EEEvSM_.has_indirect_call, 0
	.section	.AMDGPU.csdata,"",@progbits
; Kernel info:
; codeLenInByte = 0
; TotalNumSgprs: 4
; NumVgprs: 0
; ScratchSize: 0
; MemoryBound: 0
; FloatMode: 240
; IeeeMode: 1
; LDSByteSize: 0 bytes/workgroup (compile time only)
; SGPRBlocks: 0
; VGPRBlocks: 0
; NumSGPRsForWavesPerEU: 4
; NumVGPRsForWavesPerEU: 1
; Occupancy: 10
; WaveLimiterHint : 0
; COMPUTE_PGM_RSRC2:SCRATCH_EN: 0
; COMPUTE_PGM_RSRC2:USER_SGPR: 6
; COMPUTE_PGM_RSRC2:TRAP_HANDLER: 0
; COMPUTE_PGM_RSRC2:TGID_X_EN: 1
; COMPUTE_PGM_RSRC2:TGID_Y_EN: 0
; COMPUTE_PGM_RSRC2:TGID_Z_EN: 0
; COMPUTE_PGM_RSRC2:TIDIG_COMP_CNT: 0
	.section	.text._ZN7rocprim17ROCPRIM_400000_NS6detail17trampoline_kernelINS0_14default_configENS1_22reduce_config_selectorIfEEZNS1_11reduce_implILb1ES3_N6thrust23THRUST_200600_302600_NS11hip_rocprim26transform_input_iterator_tIfNS8_17counting_iteratorIiNS8_11use_defaultESC_SC_EE11estimate_piEEPffNS8_4plusIfEEEE10hipError_tPvRmT1_T2_T3_mT4_P12ihipStream_tbEUlT_E1_NS1_11comp_targetILNS1_3genE9ELNS1_11target_archE1100ELNS1_3gpuE3ELNS1_3repE0EEENS1_30default_config_static_selectorELNS0_4arch9wavefront6targetE1EEEvSM_,"axG",@progbits,_ZN7rocprim17ROCPRIM_400000_NS6detail17trampoline_kernelINS0_14default_configENS1_22reduce_config_selectorIfEEZNS1_11reduce_implILb1ES3_N6thrust23THRUST_200600_302600_NS11hip_rocprim26transform_input_iterator_tIfNS8_17counting_iteratorIiNS8_11use_defaultESC_SC_EE11estimate_piEEPffNS8_4plusIfEEEE10hipError_tPvRmT1_T2_T3_mT4_P12ihipStream_tbEUlT_E1_NS1_11comp_targetILNS1_3genE9ELNS1_11target_archE1100ELNS1_3gpuE3ELNS1_3repE0EEENS1_30default_config_static_selectorELNS0_4arch9wavefront6targetE1EEEvSM_,comdat
	.protected	_ZN7rocprim17ROCPRIM_400000_NS6detail17trampoline_kernelINS0_14default_configENS1_22reduce_config_selectorIfEEZNS1_11reduce_implILb1ES3_N6thrust23THRUST_200600_302600_NS11hip_rocprim26transform_input_iterator_tIfNS8_17counting_iteratorIiNS8_11use_defaultESC_SC_EE11estimate_piEEPffNS8_4plusIfEEEE10hipError_tPvRmT1_T2_T3_mT4_P12ihipStream_tbEUlT_E1_NS1_11comp_targetILNS1_3genE9ELNS1_11target_archE1100ELNS1_3gpuE3ELNS1_3repE0EEENS1_30default_config_static_selectorELNS0_4arch9wavefront6targetE1EEEvSM_ ; -- Begin function _ZN7rocprim17ROCPRIM_400000_NS6detail17trampoline_kernelINS0_14default_configENS1_22reduce_config_selectorIfEEZNS1_11reduce_implILb1ES3_N6thrust23THRUST_200600_302600_NS11hip_rocprim26transform_input_iterator_tIfNS8_17counting_iteratorIiNS8_11use_defaultESC_SC_EE11estimate_piEEPffNS8_4plusIfEEEE10hipError_tPvRmT1_T2_T3_mT4_P12ihipStream_tbEUlT_E1_NS1_11comp_targetILNS1_3genE9ELNS1_11target_archE1100ELNS1_3gpuE3ELNS1_3repE0EEENS1_30default_config_static_selectorELNS0_4arch9wavefront6targetE1EEEvSM_
	.globl	_ZN7rocprim17ROCPRIM_400000_NS6detail17trampoline_kernelINS0_14default_configENS1_22reduce_config_selectorIfEEZNS1_11reduce_implILb1ES3_N6thrust23THRUST_200600_302600_NS11hip_rocprim26transform_input_iterator_tIfNS8_17counting_iteratorIiNS8_11use_defaultESC_SC_EE11estimate_piEEPffNS8_4plusIfEEEE10hipError_tPvRmT1_T2_T3_mT4_P12ihipStream_tbEUlT_E1_NS1_11comp_targetILNS1_3genE9ELNS1_11target_archE1100ELNS1_3gpuE3ELNS1_3repE0EEENS1_30default_config_static_selectorELNS0_4arch9wavefront6targetE1EEEvSM_
	.p2align	8
	.type	_ZN7rocprim17ROCPRIM_400000_NS6detail17trampoline_kernelINS0_14default_configENS1_22reduce_config_selectorIfEEZNS1_11reduce_implILb1ES3_N6thrust23THRUST_200600_302600_NS11hip_rocprim26transform_input_iterator_tIfNS8_17counting_iteratorIiNS8_11use_defaultESC_SC_EE11estimate_piEEPffNS8_4plusIfEEEE10hipError_tPvRmT1_T2_T3_mT4_P12ihipStream_tbEUlT_E1_NS1_11comp_targetILNS1_3genE9ELNS1_11target_archE1100ELNS1_3gpuE3ELNS1_3repE0EEENS1_30default_config_static_selectorELNS0_4arch9wavefront6targetE1EEEvSM_,@function
_ZN7rocprim17ROCPRIM_400000_NS6detail17trampoline_kernelINS0_14default_configENS1_22reduce_config_selectorIfEEZNS1_11reduce_implILb1ES3_N6thrust23THRUST_200600_302600_NS11hip_rocprim26transform_input_iterator_tIfNS8_17counting_iteratorIiNS8_11use_defaultESC_SC_EE11estimate_piEEPffNS8_4plusIfEEEE10hipError_tPvRmT1_T2_T3_mT4_P12ihipStream_tbEUlT_E1_NS1_11comp_targetILNS1_3genE9ELNS1_11target_archE1100ELNS1_3gpuE3ELNS1_3repE0EEENS1_30default_config_static_selectorELNS0_4arch9wavefront6targetE1EEEvSM_: ; @_ZN7rocprim17ROCPRIM_400000_NS6detail17trampoline_kernelINS0_14default_configENS1_22reduce_config_selectorIfEEZNS1_11reduce_implILb1ES3_N6thrust23THRUST_200600_302600_NS11hip_rocprim26transform_input_iterator_tIfNS8_17counting_iteratorIiNS8_11use_defaultESC_SC_EE11estimate_piEEPffNS8_4plusIfEEEE10hipError_tPvRmT1_T2_T3_mT4_P12ihipStream_tbEUlT_E1_NS1_11comp_targetILNS1_3genE9ELNS1_11target_archE1100ELNS1_3gpuE3ELNS1_3repE0EEENS1_30default_config_static_selectorELNS0_4arch9wavefront6targetE1EEEvSM_
; %bb.0:
	.section	.rodata,"a",@progbits
	.p2align	6, 0x0
	.amdhsa_kernel _ZN7rocprim17ROCPRIM_400000_NS6detail17trampoline_kernelINS0_14default_configENS1_22reduce_config_selectorIfEEZNS1_11reduce_implILb1ES3_N6thrust23THRUST_200600_302600_NS11hip_rocprim26transform_input_iterator_tIfNS8_17counting_iteratorIiNS8_11use_defaultESC_SC_EE11estimate_piEEPffNS8_4plusIfEEEE10hipError_tPvRmT1_T2_T3_mT4_P12ihipStream_tbEUlT_E1_NS1_11comp_targetILNS1_3genE9ELNS1_11target_archE1100ELNS1_3gpuE3ELNS1_3repE0EEENS1_30default_config_static_selectorELNS0_4arch9wavefront6targetE1EEEvSM_
		.amdhsa_group_segment_fixed_size 0
		.amdhsa_private_segment_fixed_size 0
		.amdhsa_kernarg_size 40
		.amdhsa_user_sgpr_count 6
		.amdhsa_user_sgpr_private_segment_buffer 1
		.amdhsa_user_sgpr_dispatch_ptr 0
		.amdhsa_user_sgpr_queue_ptr 0
		.amdhsa_user_sgpr_kernarg_segment_ptr 1
		.amdhsa_user_sgpr_dispatch_id 0
		.amdhsa_user_sgpr_flat_scratch_init 0
		.amdhsa_user_sgpr_private_segment_size 0
		.amdhsa_uses_dynamic_stack 0
		.amdhsa_system_sgpr_private_segment_wavefront_offset 0
		.amdhsa_system_sgpr_workgroup_id_x 1
		.amdhsa_system_sgpr_workgroup_id_y 0
		.amdhsa_system_sgpr_workgroup_id_z 0
		.amdhsa_system_sgpr_workgroup_info 0
		.amdhsa_system_vgpr_workitem_id 0
		.amdhsa_next_free_vgpr 1
		.amdhsa_next_free_sgpr 0
		.amdhsa_reserve_vcc 0
		.amdhsa_reserve_flat_scratch 0
		.amdhsa_float_round_mode_32 0
		.amdhsa_float_round_mode_16_64 0
		.amdhsa_float_denorm_mode_32 3
		.amdhsa_float_denorm_mode_16_64 3
		.amdhsa_dx10_clamp 1
		.amdhsa_ieee_mode 1
		.amdhsa_fp16_overflow 0
		.amdhsa_exception_fp_ieee_invalid_op 0
		.amdhsa_exception_fp_denorm_src 0
		.amdhsa_exception_fp_ieee_div_zero 0
		.amdhsa_exception_fp_ieee_overflow 0
		.amdhsa_exception_fp_ieee_underflow 0
		.amdhsa_exception_fp_ieee_inexact 0
		.amdhsa_exception_int_div_zero 0
	.end_amdhsa_kernel
	.section	.text._ZN7rocprim17ROCPRIM_400000_NS6detail17trampoline_kernelINS0_14default_configENS1_22reduce_config_selectorIfEEZNS1_11reduce_implILb1ES3_N6thrust23THRUST_200600_302600_NS11hip_rocprim26transform_input_iterator_tIfNS8_17counting_iteratorIiNS8_11use_defaultESC_SC_EE11estimate_piEEPffNS8_4plusIfEEEE10hipError_tPvRmT1_T2_T3_mT4_P12ihipStream_tbEUlT_E1_NS1_11comp_targetILNS1_3genE9ELNS1_11target_archE1100ELNS1_3gpuE3ELNS1_3repE0EEENS1_30default_config_static_selectorELNS0_4arch9wavefront6targetE1EEEvSM_,"axG",@progbits,_ZN7rocprim17ROCPRIM_400000_NS6detail17trampoline_kernelINS0_14default_configENS1_22reduce_config_selectorIfEEZNS1_11reduce_implILb1ES3_N6thrust23THRUST_200600_302600_NS11hip_rocprim26transform_input_iterator_tIfNS8_17counting_iteratorIiNS8_11use_defaultESC_SC_EE11estimate_piEEPffNS8_4plusIfEEEE10hipError_tPvRmT1_T2_T3_mT4_P12ihipStream_tbEUlT_E1_NS1_11comp_targetILNS1_3genE9ELNS1_11target_archE1100ELNS1_3gpuE3ELNS1_3repE0EEENS1_30default_config_static_selectorELNS0_4arch9wavefront6targetE1EEEvSM_,comdat
.Lfunc_end34:
	.size	_ZN7rocprim17ROCPRIM_400000_NS6detail17trampoline_kernelINS0_14default_configENS1_22reduce_config_selectorIfEEZNS1_11reduce_implILb1ES3_N6thrust23THRUST_200600_302600_NS11hip_rocprim26transform_input_iterator_tIfNS8_17counting_iteratorIiNS8_11use_defaultESC_SC_EE11estimate_piEEPffNS8_4plusIfEEEE10hipError_tPvRmT1_T2_T3_mT4_P12ihipStream_tbEUlT_E1_NS1_11comp_targetILNS1_3genE9ELNS1_11target_archE1100ELNS1_3gpuE3ELNS1_3repE0EEENS1_30default_config_static_selectorELNS0_4arch9wavefront6targetE1EEEvSM_, .Lfunc_end34-_ZN7rocprim17ROCPRIM_400000_NS6detail17trampoline_kernelINS0_14default_configENS1_22reduce_config_selectorIfEEZNS1_11reduce_implILb1ES3_N6thrust23THRUST_200600_302600_NS11hip_rocprim26transform_input_iterator_tIfNS8_17counting_iteratorIiNS8_11use_defaultESC_SC_EE11estimate_piEEPffNS8_4plusIfEEEE10hipError_tPvRmT1_T2_T3_mT4_P12ihipStream_tbEUlT_E1_NS1_11comp_targetILNS1_3genE9ELNS1_11target_archE1100ELNS1_3gpuE3ELNS1_3repE0EEENS1_30default_config_static_selectorELNS0_4arch9wavefront6targetE1EEEvSM_
                                        ; -- End function
	.set _ZN7rocprim17ROCPRIM_400000_NS6detail17trampoline_kernelINS0_14default_configENS1_22reduce_config_selectorIfEEZNS1_11reduce_implILb1ES3_N6thrust23THRUST_200600_302600_NS11hip_rocprim26transform_input_iterator_tIfNS8_17counting_iteratorIiNS8_11use_defaultESC_SC_EE11estimate_piEEPffNS8_4plusIfEEEE10hipError_tPvRmT1_T2_T3_mT4_P12ihipStream_tbEUlT_E1_NS1_11comp_targetILNS1_3genE9ELNS1_11target_archE1100ELNS1_3gpuE3ELNS1_3repE0EEENS1_30default_config_static_selectorELNS0_4arch9wavefront6targetE1EEEvSM_.num_vgpr, 0
	.set _ZN7rocprim17ROCPRIM_400000_NS6detail17trampoline_kernelINS0_14default_configENS1_22reduce_config_selectorIfEEZNS1_11reduce_implILb1ES3_N6thrust23THRUST_200600_302600_NS11hip_rocprim26transform_input_iterator_tIfNS8_17counting_iteratorIiNS8_11use_defaultESC_SC_EE11estimate_piEEPffNS8_4plusIfEEEE10hipError_tPvRmT1_T2_T3_mT4_P12ihipStream_tbEUlT_E1_NS1_11comp_targetILNS1_3genE9ELNS1_11target_archE1100ELNS1_3gpuE3ELNS1_3repE0EEENS1_30default_config_static_selectorELNS0_4arch9wavefront6targetE1EEEvSM_.num_agpr, 0
	.set _ZN7rocprim17ROCPRIM_400000_NS6detail17trampoline_kernelINS0_14default_configENS1_22reduce_config_selectorIfEEZNS1_11reduce_implILb1ES3_N6thrust23THRUST_200600_302600_NS11hip_rocprim26transform_input_iterator_tIfNS8_17counting_iteratorIiNS8_11use_defaultESC_SC_EE11estimate_piEEPffNS8_4plusIfEEEE10hipError_tPvRmT1_T2_T3_mT4_P12ihipStream_tbEUlT_E1_NS1_11comp_targetILNS1_3genE9ELNS1_11target_archE1100ELNS1_3gpuE3ELNS1_3repE0EEENS1_30default_config_static_selectorELNS0_4arch9wavefront6targetE1EEEvSM_.numbered_sgpr, 0
	.set _ZN7rocprim17ROCPRIM_400000_NS6detail17trampoline_kernelINS0_14default_configENS1_22reduce_config_selectorIfEEZNS1_11reduce_implILb1ES3_N6thrust23THRUST_200600_302600_NS11hip_rocprim26transform_input_iterator_tIfNS8_17counting_iteratorIiNS8_11use_defaultESC_SC_EE11estimate_piEEPffNS8_4plusIfEEEE10hipError_tPvRmT1_T2_T3_mT4_P12ihipStream_tbEUlT_E1_NS1_11comp_targetILNS1_3genE9ELNS1_11target_archE1100ELNS1_3gpuE3ELNS1_3repE0EEENS1_30default_config_static_selectorELNS0_4arch9wavefront6targetE1EEEvSM_.num_named_barrier, 0
	.set _ZN7rocprim17ROCPRIM_400000_NS6detail17trampoline_kernelINS0_14default_configENS1_22reduce_config_selectorIfEEZNS1_11reduce_implILb1ES3_N6thrust23THRUST_200600_302600_NS11hip_rocprim26transform_input_iterator_tIfNS8_17counting_iteratorIiNS8_11use_defaultESC_SC_EE11estimate_piEEPffNS8_4plusIfEEEE10hipError_tPvRmT1_T2_T3_mT4_P12ihipStream_tbEUlT_E1_NS1_11comp_targetILNS1_3genE9ELNS1_11target_archE1100ELNS1_3gpuE3ELNS1_3repE0EEENS1_30default_config_static_selectorELNS0_4arch9wavefront6targetE1EEEvSM_.private_seg_size, 0
	.set _ZN7rocprim17ROCPRIM_400000_NS6detail17trampoline_kernelINS0_14default_configENS1_22reduce_config_selectorIfEEZNS1_11reduce_implILb1ES3_N6thrust23THRUST_200600_302600_NS11hip_rocprim26transform_input_iterator_tIfNS8_17counting_iteratorIiNS8_11use_defaultESC_SC_EE11estimate_piEEPffNS8_4plusIfEEEE10hipError_tPvRmT1_T2_T3_mT4_P12ihipStream_tbEUlT_E1_NS1_11comp_targetILNS1_3genE9ELNS1_11target_archE1100ELNS1_3gpuE3ELNS1_3repE0EEENS1_30default_config_static_selectorELNS0_4arch9wavefront6targetE1EEEvSM_.uses_vcc, 0
	.set _ZN7rocprim17ROCPRIM_400000_NS6detail17trampoline_kernelINS0_14default_configENS1_22reduce_config_selectorIfEEZNS1_11reduce_implILb1ES3_N6thrust23THRUST_200600_302600_NS11hip_rocprim26transform_input_iterator_tIfNS8_17counting_iteratorIiNS8_11use_defaultESC_SC_EE11estimate_piEEPffNS8_4plusIfEEEE10hipError_tPvRmT1_T2_T3_mT4_P12ihipStream_tbEUlT_E1_NS1_11comp_targetILNS1_3genE9ELNS1_11target_archE1100ELNS1_3gpuE3ELNS1_3repE0EEENS1_30default_config_static_selectorELNS0_4arch9wavefront6targetE1EEEvSM_.uses_flat_scratch, 0
	.set _ZN7rocprim17ROCPRIM_400000_NS6detail17trampoline_kernelINS0_14default_configENS1_22reduce_config_selectorIfEEZNS1_11reduce_implILb1ES3_N6thrust23THRUST_200600_302600_NS11hip_rocprim26transform_input_iterator_tIfNS8_17counting_iteratorIiNS8_11use_defaultESC_SC_EE11estimate_piEEPffNS8_4plusIfEEEE10hipError_tPvRmT1_T2_T3_mT4_P12ihipStream_tbEUlT_E1_NS1_11comp_targetILNS1_3genE9ELNS1_11target_archE1100ELNS1_3gpuE3ELNS1_3repE0EEENS1_30default_config_static_selectorELNS0_4arch9wavefront6targetE1EEEvSM_.has_dyn_sized_stack, 0
	.set _ZN7rocprim17ROCPRIM_400000_NS6detail17trampoline_kernelINS0_14default_configENS1_22reduce_config_selectorIfEEZNS1_11reduce_implILb1ES3_N6thrust23THRUST_200600_302600_NS11hip_rocprim26transform_input_iterator_tIfNS8_17counting_iteratorIiNS8_11use_defaultESC_SC_EE11estimate_piEEPffNS8_4plusIfEEEE10hipError_tPvRmT1_T2_T3_mT4_P12ihipStream_tbEUlT_E1_NS1_11comp_targetILNS1_3genE9ELNS1_11target_archE1100ELNS1_3gpuE3ELNS1_3repE0EEENS1_30default_config_static_selectorELNS0_4arch9wavefront6targetE1EEEvSM_.has_recursion, 0
	.set _ZN7rocprim17ROCPRIM_400000_NS6detail17trampoline_kernelINS0_14default_configENS1_22reduce_config_selectorIfEEZNS1_11reduce_implILb1ES3_N6thrust23THRUST_200600_302600_NS11hip_rocprim26transform_input_iterator_tIfNS8_17counting_iteratorIiNS8_11use_defaultESC_SC_EE11estimate_piEEPffNS8_4plusIfEEEE10hipError_tPvRmT1_T2_T3_mT4_P12ihipStream_tbEUlT_E1_NS1_11comp_targetILNS1_3genE9ELNS1_11target_archE1100ELNS1_3gpuE3ELNS1_3repE0EEENS1_30default_config_static_selectorELNS0_4arch9wavefront6targetE1EEEvSM_.has_indirect_call, 0
	.section	.AMDGPU.csdata,"",@progbits
; Kernel info:
; codeLenInByte = 0
; TotalNumSgprs: 4
; NumVgprs: 0
; ScratchSize: 0
; MemoryBound: 0
; FloatMode: 240
; IeeeMode: 1
; LDSByteSize: 0 bytes/workgroup (compile time only)
; SGPRBlocks: 0
; VGPRBlocks: 0
; NumSGPRsForWavesPerEU: 4
; NumVGPRsForWavesPerEU: 1
; Occupancy: 10
; WaveLimiterHint : 0
; COMPUTE_PGM_RSRC2:SCRATCH_EN: 0
; COMPUTE_PGM_RSRC2:USER_SGPR: 6
; COMPUTE_PGM_RSRC2:TRAP_HANDLER: 0
; COMPUTE_PGM_RSRC2:TGID_X_EN: 1
; COMPUTE_PGM_RSRC2:TGID_Y_EN: 0
; COMPUTE_PGM_RSRC2:TGID_Z_EN: 0
; COMPUTE_PGM_RSRC2:TIDIG_COMP_CNT: 0
	.section	.text._ZN7rocprim17ROCPRIM_400000_NS6detail17trampoline_kernelINS0_14default_configENS1_22reduce_config_selectorIfEEZNS1_11reduce_implILb1ES3_N6thrust23THRUST_200600_302600_NS11hip_rocprim26transform_input_iterator_tIfNS8_17counting_iteratorIiNS8_11use_defaultESC_SC_EE11estimate_piEEPffNS8_4plusIfEEEE10hipError_tPvRmT1_T2_T3_mT4_P12ihipStream_tbEUlT_E1_NS1_11comp_targetILNS1_3genE8ELNS1_11target_archE1030ELNS1_3gpuE2ELNS1_3repE0EEENS1_30default_config_static_selectorELNS0_4arch9wavefront6targetE1EEEvSM_,"axG",@progbits,_ZN7rocprim17ROCPRIM_400000_NS6detail17trampoline_kernelINS0_14default_configENS1_22reduce_config_selectorIfEEZNS1_11reduce_implILb1ES3_N6thrust23THRUST_200600_302600_NS11hip_rocprim26transform_input_iterator_tIfNS8_17counting_iteratorIiNS8_11use_defaultESC_SC_EE11estimate_piEEPffNS8_4plusIfEEEE10hipError_tPvRmT1_T2_T3_mT4_P12ihipStream_tbEUlT_E1_NS1_11comp_targetILNS1_3genE8ELNS1_11target_archE1030ELNS1_3gpuE2ELNS1_3repE0EEENS1_30default_config_static_selectorELNS0_4arch9wavefront6targetE1EEEvSM_,comdat
	.protected	_ZN7rocprim17ROCPRIM_400000_NS6detail17trampoline_kernelINS0_14default_configENS1_22reduce_config_selectorIfEEZNS1_11reduce_implILb1ES3_N6thrust23THRUST_200600_302600_NS11hip_rocprim26transform_input_iterator_tIfNS8_17counting_iteratorIiNS8_11use_defaultESC_SC_EE11estimate_piEEPffNS8_4plusIfEEEE10hipError_tPvRmT1_T2_T3_mT4_P12ihipStream_tbEUlT_E1_NS1_11comp_targetILNS1_3genE8ELNS1_11target_archE1030ELNS1_3gpuE2ELNS1_3repE0EEENS1_30default_config_static_selectorELNS0_4arch9wavefront6targetE1EEEvSM_ ; -- Begin function _ZN7rocprim17ROCPRIM_400000_NS6detail17trampoline_kernelINS0_14default_configENS1_22reduce_config_selectorIfEEZNS1_11reduce_implILb1ES3_N6thrust23THRUST_200600_302600_NS11hip_rocprim26transform_input_iterator_tIfNS8_17counting_iteratorIiNS8_11use_defaultESC_SC_EE11estimate_piEEPffNS8_4plusIfEEEE10hipError_tPvRmT1_T2_T3_mT4_P12ihipStream_tbEUlT_E1_NS1_11comp_targetILNS1_3genE8ELNS1_11target_archE1030ELNS1_3gpuE2ELNS1_3repE0EEENS1_30default_config_static_selectorELNS0_4arch9wavefront6targetE1EEEvSM_
	.globl	_ZN7rocprim17ROCPRIM_400000_NS6detail17trampoline_kernelINS0_14default_configENS1_22reduce_config_selectorIfEEZNS1_11reduce_implILb1ES3_N6thrust23THRUST_200600_302600_NS11hip_rocprim26transform_input_iterator_tIfNS8_17counting_iteratorIiNS8_11use_defaultESC_SC_EE11estimate_piEEPffNS8_4plusIfEEEE10hipError_tPvRmT1_T2_T3_mT4_P12ihipStream_tbEUlT_E1_NS1_11comp_targetILNS1_3genE8ELNS1_11target_archE1030ELNS1_3gpuE2ELNS1_3repE0EEENS1_30default_config_static_selectorELNS0_4arch9wavefront6targetE1EEEvSM_
	.p2align	8
	.type	_ZN7rocprim17ROCPRIM_400000_NS6detail17trampoline_kernelINS0_14default_configENS1_22reduce_config_selectorIfEEZNS1_11reduce_implILb1ES3_N6thrust23THRUST_200600_302600_NS11hip_rocprim26transform_input_iterator_tIfNS8_17counting_iteratorIiNS8_11use_defaultESC_SC_EE11estimate_piEEPffNS8_4plusIfEEEE10hipError_tPvRmT1_T2_T3_mT4_P12ihipStream_tbEUlT_E1_NS1_11comp_targetILNS1_3genE8ELNS1_11target_archE1030ELNS1_3gpuE2ELNS1_3repE0EEENS1_30default_config_static_selectorELNS0_4arch9wavefront6targetE1EEEvSM_,@function
_ZN7rocprim17ROCPRIM_400000_NS6detail17trampoline_kernelINS0_14default_configENS1_22reduce_config_selectorIfEEZNS1_11reduce_implILb1ES3_N6thrust23THRUST_200600_302600_NS11hip_rocprim26transform_input_iterator_tIfNS8_17counting_iteratorIiNS8_11use_defaultESC_SC_EE11estimate_piEEPffNS8_4plusIfEEEE10hipError_tPvRmT1_T2_T3_mT4_P12ihipStream_tbEUlT_E1_NS1_11comp_targetILNS1_3genE8ELNS1_11target_archE1030ELNS1_3gpuE2ELNS1_3repE0EEENS1_30default_config_static_selectorELNS0_4arch9wavefront6targetE1EEEvSM_: ; @_ZN7rocprim17ROCPRIM_400000_NS6detail17trampoline_kernelINS0_14default_configENS1_22reduce_config_selectorIfEEZNS1_11reduce_implILb1ES3_N6thrust23THRUST_200600_302600_NS11hip_rocprim26transform_input_iterator_tIfNS8_17counting_iteratorIiNS8_11use_defaultESC_SC_EE11estimate_piEEPffNS8_4plusIfEEEE10hipError_tPvRmT1_T2_T3_mT4_P12ihipStream_tbEUlT_E1_NS1_11comp_targetILNS1_3genE8ELNS1_11target_archE1030ELNS1_3gpuE2ELNS1_3repE0EEENS1_30default_config_static_selectorELNS0_4arch9wavefront6targetE1EEEvSM_
; %bb.0:
	.section	.rodata,"a",@progbits
	.p2align	6, 0x0
	.amdhsa_kernel _ZN7rocprim17ROCPRIM_400000_NS6detail17trampoline_kernelINS0_14default_configENS1_22reduce_config_selectorIfEEZNS1_11reduce_implILb1ES3_N6thrust23THRUST_200600_302600_NS11hip_rocprim26transform_input_iterator_tIfNS8_17counting_iteratorIiNS8_11use_defaultESC_SC_EE11estimate_piEEPffNS8_4plusIfEEEE10hipError_tPvRmT1_T2_T3_mT4_P12ihipStream_tbEUlT_E1_NS1_11comp_targetILNS1_3genE8ELNS1_11target_archE1030ELNS1_3gpuE2ELNS1_3repE0EEENS1_30default_config_static_selectorELNS0_4arch9wavefront6targetE1EEEvSM_
		.amdhsa_group_segment_fixed_size 0
		.amdhsa_private_segment_fixed_size 0
		.amdhsa_kernarg_size 40
		.amdhsa_user_sgpr_count 6
		.amdhsa_user_sgpr_private_segment_buffer 1
		.amdhsa_user_sgpr_dispatch_ptr 0
		.amdhsa_user_sgpr_queue_ptr 0
		.amdhsa_user_sgpr_kernarg_segment_ptr 1
		.amdhsa_user_sgpr_dispatch_id 0
		.amdhsa_user_sgpr_flat_scratch_init 0
		.amdhsa_user_sgpr_private_segment_size 0
		.amdhsa_uses_dynamic_stack 0
		.amdhsa_system_sgpr_private_segment_wavefront_offset 0
		.amdhsa_system_sgpr_workgroup_id_x 1
		.amdhsa_system_sgpr_workgroup_id_y 0
		.amdhsa_system_sgpr_workgroup_id_z 0
		.amdhsa_system_sgpr_workgroup_info 0
		.amdhsa_system_vgpr_workitem_id 0
		.amdhsa_next_free_vgpr 1
		.amdhsa_next_free_sgpr 0
		.amdhsa_reserve_vcc 0
		.amdhsa_reserve_flat_scratch 0
		.amdhsa_float_round_mode_32 0
		.amdhsa_float_round_mode_16_64 0
		.amdhsa_float_denorm_mode_32 3
		.amdhsa_float_denorm_mode_16_64 3
		.amdhsa_dx10_clamp 1
		.amdhsa_ieee_mode 1
		.amdhsa_fp16_overflow 0
		.amdhsa_exception_fp_ieee_invalid_op 0
		.amdhsa_exception_fp_denorm_src 0
		.amdhsa_exception_fp_ieee_div_zero 0
		.amdhsa_exception_fp_ieee_overflow 0
		.amdhsa_exception_fp_ieee_underflow 0
		.amdhsa_exception_fp_ieee_inexact 0
		.amdhsa_exception_int_div_zero 0
	.end_amdhsa_kernel
	.section	.text._ZN7rocprim17ROCPRIM_400000_NS6detail17trampoline_kernelINS0_14default_configENS1_22reduce_config_selectorIfEEZNS1_11reduce_implILb1ES3_N6thrust23THRUST_200600_302600_NS11hip_rocprim26transform_input_iterator_tIfNS8_17counting_iteratorIiNS8_11use_defaultESC_SC_EE11estimate_piEEPffNS8_4plusIfEEEE10hipError_tPvRmT1_T2_T3_mT4_P12ihipStream_tbEUlT_E1_NS1_11comp_targetILNS1_3genE8ELNS1_11target_archE1030ELNS1_3gpuE2ELNS1_3repE0EEENS1_30default_config_static_selectorELNS0_4arch9wavefront6targetE1EEEvSM_,"axG",@progbits,_ZN7rocprim17ROCPRIM_400000_NS6detail17trampoline_kernelINS0_14default_configENS1_22reduce_config_selectorIfEEZNS1_11reduce_implILb1ES3_N6thrust23THRUST_200600_302600_NS11hip_rocprim26transform_input_iterator_tIfNS8_17counting_iteratorIiNS8_11use_defaultESC_SC_EE11estimate_piEEPffNS8_4plusIfEEEE10hipError_tPvRmT1_T2_T3_mT4_P12ihipStream_tbEUlT_E1_NS1_11comp_targetILNS1_3genE8ELNS1_11target_archE1030ELNS1_3gpuE2ELNS1_3repE0EEENS1_30default_config_static_selectorELNS0_4arch9wavefront6targetE1EEEvSM_,comdat
.Lfunc_end35:
	.size	_ZN7rocprim17ROCPRIM_400000_NS6detail17trampoline_kernelINS0_14default_configENS1_22reduce_config_selectorIfEEZNS1_11reduce_implILb1ES3_N6thrust23THRUST_200600_302600_NS11hip_rocprim26transform_input_iterator_tIfNS8_17counting_iteratorIiNS8_11use_defaultESC_SC_EE11estimate_piEEPffNS8_4plusIfEEEE10hipError_tPvRmT1_T2_T3_mT4_P12ihipStream_tbEUlT_E1_NS1_11comp_targetILNS1_3genE8ELNS1_11target_archE1030ELNS1_3gpuE2ELNS1_3repE0EEENS1_30default_config_static_selectorELNS0_4arch9wavefront6targetE1EEEvSM_, .Lfunc_end35-_ZN7rocprim17ROCPRIM_400000_NS6detail17trampoline_kernelINS0_14default_configENS1_22reduce_config_selectorIfEEZNS1_11reduce_implILb1ES3_N6thrust23THRUST_200600_302600_NS11hip_rocprim26transform_input_iterator_tIfNS8_17counting_iteratorIiNS8_11use_defaultESC_SC_EE11estimate_piEEPffNS8_4plusIfEEEE10hipError_tPvRmT1_T2_T3_mT4_P12ihipStream_tbEUlT_E1_NS1_11comp_targetILNS1_3genE8ELNS1_11target_archE1030ELNS1_3gpuE2ELNS1_3repE0EEENS1_30default_config_static_selectorELNS0_4arch9wavefront6targetE1EEEvSM_
                                        ; -- End function
	.set _ZN7rocprim17ROCPRIM_400000_NS6detail17trampoline_kernelINS0_14default_configENS1_22reduce_config_selectorIfEEZNS1_11reduce_implILb1ES3_N6thrust23THRUST_200600_302600_NS11hip_rocprim26transform_input_iterator_tIfNS8_17counting_iteratorIiNS8_11use_defaultESC_SC_EE11estimate_piEEPffNS8_4plusIfEEEE10hipError_tPvRmT1_T2_T3_mT4_P12ihipStream_tbEUlT_E1_NS1_11comp_targetILNS1_3genE8ELNS1_11target_archE1030ELNS1_3gpuE2ELNS1_3repE0EEENS1_30default_config_static_selectorELNS0_4arch9wavefront6targetE1EEEvSM_.num_vgpr, 0
	.set _ZN7rocprim17ROCPRIM_400000_NS6detail17trampoline_kernelINS0_14default_configENS1_22reduce_config_selectorIfEEZNS1_11reduce_implILb1ES3_N6thrust23THRUST_200600_302600_NS11hip_rocprim26transform_input_iterator_tIfNS8_17counting_iteratorIiNS8_11use_defaultESC_SC_EE11estimate_piEEPffNS8_4plusIfEEEE10hipError_tPvRmT1_T2_T3_mT4_P12ihipStream_tbEUlT_E1_NS1_11comp_targetILNS1_3genE8ELNS1_11target_archE1030ELNS1_3gpuE2ELNS1_3repE0EEENS1_30default_config_static_selectorELNS0_4arch9wavefront6targetE1EEEvSM_.num_agpr, 0
	.set _ZN7rocprim17ROCPRIM_400000_NS6detail17trampoline_kernelINS0_14default_configENS1_22reduce_config_selectorIfEEZNS1_11reduce_implILb1ES3_N6thrust23THRUST_200600_302600_NS11hip_rocprim26transform_input_iterator_tIfNS8_17counting_iteratorIiNS8_11use_defaultESC_SC_EE11estimate_piEEPffNS8_4plusIfEEEE10hipError_tPvRmT1_T2_T3_mT4_P12ihipStream_tbEUlT_E1_NS1_11comp_targetILNS1_3genE8ELNS1_11target_archE1030ELNS1_3gpuE2ELNS1_3repE0EEENS1_30default_config_static_selectorELNS0_4arch9wavefront6targetE1EEEvSM_.numbered_sgpr, 0
	.set _ZN7rocprim17ROCPRIM_400000_NS6detail17trampoline_kernelINS0_14default_configENS1_22reduce_config_selectorIfEEZNS1_11reduce_implILb1ES3_N6thrust23THRUST_200600_302600_NS11hip_rocprim26transform_input_iterator_tIfNS8_17counting_iteratorIiNS8_11use_defaultESC_SC_EE11estimate_piEEPffNS8_4plusIfEEEE10hipError_tPvRmT1_T2_T3_mT4_P12ihipStream_tbEUlT_E1_NS1_11comp_targetILNS1_3genE8ELNS1_11target_archE1030ELNS1_3gpuE2ELNS1_3repE0EEENS1_30default_config_static_selectorELNS0_4arch9wavefront6targetE1EEEvSM_.num_named_barrier, 0
	.set _ZN7rocprim17ROCPRIM_400000_NS6detail17trampoline_kernelINS0_14default_configENS1_22reduce_config_selectorIfEEZNS1_11reduce_implILb1ES3_N6thrust23THRUST_200600_302600_NS11hip_rocprim26transform_input_iterator_tIfNS8_17counting_iteratorIiNS8_11use_defaultESC_SC_EE11estimate_piEEPffNS8_4plusIfEEEE10hipError_tPvRmT1_T2_T3_mT4_P12ihipStream_tbEUlT_E1_NS1_11comp_targetILNS1_3genE8ELNS1_11target_archE1030ELNS1_3gpuE2ELNS1_3repE0EEENS1_30default_config_static_selectorELNS0_4arch9wavefront6targetE1EEEvSM_.private_seg_size, 0
	.set _ZN7rocprim17ROCPRIM_400000_NS6detail17trampoline_kernelINS0_14default_configENS1_22reduce_config_selectorIfEEZNS1_11reduce_implILb1ES3_N6thrust23THRUST_200600_302600_NS11hip_rocprim26transform_input_iterator_tIfNS8_17counting_iteratorIiNS8_11use_defaultESC_SC_EE11estimate_piEEPffNS8_4plusIfEEEE10hipError_tPvRmT1_T2_T3_mT4_P12ihipStream_tbEUlT_E1_NS1_11comp_targetILNS1_3genE8ELNS1_11target_archE1030ELNS1_3gpuE2ELNS1_3repE0EEENS1_30default_config_static_selectorELNS0_4arch9wavefront6targetE1EEEvSM_.uses_vcc, 0
	.set _ZN7rocprim17ROCPRIM_400000_NS6detail17trampoline_kernelINS0_14default_configENS1_22reduce_config_selectorIfEEZNS1_11reduce_implILb1ES3_N6thrust23THRUST_200600_302600_NS11hip_rocprim26transform_input_iterator_tIfNS8_17counting_iteratorIiNS8_11use_defaultESC_SC_EE11estimate_piEEPffNS8_4plusIfEEEE10hipError_tPvRmT1_T2_T3_mT4_P12ihipStream_tbEUlT_E1_NS1_11comp_targetILNS1_3genE8ELNS1_11target_archE1030ELNS1_3gpuE2ELNS1_3repE0EEENS1_30default_config_static_selectorELNS0_4arch9wavefront6targetE1EEEvSM_.uses_flat_scratch, 0
	.set _ZN7rocprim17ROCPRIM_400000_NS6detail17trampoline_kernelINS0_14default_configENS1_22reduce_config_selectorIfEEZNS1_11reduce_implILb1ES3_N6thrust23THRUST_200600_302600_NS11hip_rocprim26transform_input_iterator_tIfNS8_17counting_iteratorIiNS8_11use_defaultESC_SC_EE11estimate_piEEPffNS8_4plusIfEEEE10hipError_tPvRmT1_T2_T3_mT4_P12ihipStream_tbEUlT_E1_NS1_11comp_targetILNS1_3genE8ELNS1_11target_archE1030ELNS1_3gpuE2ELNS1_3repE0EEENS1_30default_config_static_selectorELNS0_4arch9wavefront6targetE1EEEvSM_.has_dyn_sized_stack, 0
	.set _ZN7rocprim17ROCPRIM_400000_NS6detail17trampoline_kernelINS0_14default_configENS1_22reduce_config_selectorIfEEZNS1_11reduce_implILb1ES3_N6thrust23THRUST_200600_302600_NS11hip_rocprim26transform_input_iterator_tIfNS8_17counting_iteratorIiNS8_11use_defaultESC_SC_EE11estimate_piEEPffNS8_4plusIfEEEE10hipError_tPvRmT1_T2_T3_mT4_P12ihipStream_tbEUlT_E1_NS1_11comp_targetILNS1_3genE8ELNS1_11target_archE1030ELNS1_3gpuE2ELNS1_3repE0EEENS1_30default_config_static_selectorELNS0_4arch9wavefront6targetE1EEEvSM_.has_recursion, 0
	.set _ZN7rocprim17ROCPRIM_400000_NS6detail17trampoline_kernelINS0_14default_configENS1_22reduce_config_selectorIfEEZNS1_11reduce_implILb1ES3_N6thrust23THRUST_200600_302600_NS11hip_rocprim26transform_input_iterator_tIfNS8_17counting_iteratorIiNS8_11use_defaultESC_SC_EE11estimate_piEEPffNS8_4plusIfEEEE10hipError_tPvRmT1_T2_T3_mT4_P12ihipStream_tbEUlT_E1_NS1_11comp_targetILNS1_3genE8ELNS1_11target_archE1030ELNS1_3gpuE2ELNS1_3repE0EEENS1_30default_config_static_selectorELNS0_4arch9wavefront6targetE1EEEvSM_.has_indirect_call, 0
	.section	.AMDGPU.csdata,"",@progbits
; Kernel info:
; codeLenInByte = 0
; TotalNumSgprs: 4
; NumVgprs: 0
; ScratchSize: 0
; MemoryBound: 0
; FloatMode: 240
; IeeeMode: 1
; LDSByteSize: 0 bytes/workgroup (compile time only)
; SGPRBlocks: 0
; VGPRBlocks: 0
; NumSGPRsForWavesPerEU: 4
; NumVGPRsForWavesPerEU: 1
; Occupancy: 10
; WaveLimiterHint : 0
; COMPUTE_PGM_RSRC2:SCRATCH_EN: 0
; COMPUTE_PGM_RSRC2:USER_SGPR: 6
; COMPUTE_PGM_RSRC2:TRAP_HANDLER: 0
; COMPUTE_PGM_RSRC2:TGID_X_EN: 1
; COMPUTE_PGM_RSRC2:TGID_Y_EN: 0
; COMPUTE_PGM_RSRC2:TGID_Z_EN: 0
; COMPUTE_PGM_RSRC2:TIDIG_COMP_CNT: 0
	.section	.AMDGPU.gpr_maximums,"",@progbits
	.set amdgpu.max_num_vgpr, 0
	.set amdgpu.max_num_agpr, 0
	.set amdgpu.max_num_sgpr, 0
	.section	.AMDGPU.csdata,"",@progbits
	.type	__hip_cuid_85453cb90abc7ee5,@object ; @__hip_cuid_85453cb90abc7ee5
	.section	.bss,"aw",@nobits
	.globl	__hip_cuid_85453cb90abc7ee5
__hip_cuid_85453cb90abc7ee5:
	.byte	0                               ; 0x0
	.size	__hip_cuid_85453cb90abc7ee5, 1

	.ident	"AMD clang version 22.0.0git (https://github.com/RadeonOpenCompute/llvm-project roc-7.2.4 26084 f58b06dce1f9c15707c5f808fd002e18c2accf7e)"
	.section	".note.GNU-stack","",@progbits
	.addrsig
	.addrsig_sym __hip_cuid_85453cb90abc7ee5
	.amdgpu_metadata
---
amdhsa.kernels:
  - .args:
      - .offset:         0
        .size:           56
        .value_kind:     by_value
    .group_segment_fixed_size: 0
    .kernarg_segment_align: 8
    .kernarg_segment_size: 56
    .language:       OpenCL C
    .language_version:
      - 2
      - 0
    .max_flat_workgroup_size: 256
    .name:           _ZN7rocprim17ROCPRIM_400000_NS6detail17trampoline_kernelINS0_14default_configENS1_22reduce_config_selectorIfEEZNS1_11reduce_implILb1ES3_PfS7_fN6thrust23THRUST_200600_302600_NS4plusIfEEEE10hipError_tPvRmT1_T2_T3_mT4_P12ihipStream_tbEUlT_E0_NS1_11comp_targetILNS1_3genE0ELNS1_11target_archE4294967295ELNS1_3gpuE0ELNS1_3repE0EEENS1_30default_config_static_selectorELNS0_4arch9wavefront6targetE1EEEvSF_
    .private_segment_fixed_size: 0
    .sgpr_count:     4
    .sgpr_spill_count: 0
    .symbol:         _ZN7rocprim17ROCPRIM_400000_NS6detail17trampoline_kernelINS0_14default_configENS1_22reduce_config_selectorIfEEZNS1_11reduce_implILb1ES3_PfS7_fN6thrust23THRUST_200600_302600_NS4plusIfEEEE10hipError_tPvRmT1_T2_T3_mT4_P12ihipStream_tbEUlT_E0_NS1_11comp_targetILNS1_3genE0ELNS1_11target_archE4294967295ELNS1_3gpuE0ELNS1_3repE0EEENS1_30default_config_static_selectorELNS0_4arch9wavefront6targetE1EEEvSF_.kd
    .uniform_work_group_size: 1
    .uses_dynamic_stack: false
    .vgpr_count:     0
    .vgpr_spill_count: 0
    .wavefront_size: 64
  - .args:
      - .offset:         0
        .size:           56
        .value_kind:     by_value
    .group_segment_fixed_size: 0
    .kernarg_segment_align: 8
    .kernarg_segment_size: 56
    .language:       OpenCL C
    .language_version:
      - 2
      - 0
    .max_flat_workgroup_size: 128
    .name:           _ZN7rocprim17ROCPRIM_400000_NS6detail17trampoline_kernelINS0_14default_configENS1_22reduce_config_selectorIfEEZNS1_11reduce_implILb1ES3_PfS7_fN6thrust23THRUST_200600_302600_NS4plusIfEEEE10hipError_tPvRmT1_T2_T3_mT4_P12ihipStream_tbEUlT_E0_NS1_11comp_targetILNS1_3genE5ELNS1_11target_archE942ELNS1_3gpuE9ELNS1_3repE0EEENS1_30default_config_static_selectorELNS0_4arch9wavefront6targetE1EEEvSF_
    .private_segment_fixed_size: 0
    .sgpr_count:     4
    .sgpr_spill_count: 0
    .symbol:         _ZN7rocprim17ROCPRIM_400000_NS6detail17trampoline_kernelINS0_14default_configENS1_22reduce_config_selectorIfEEZNS1_11reduce_implILb1ES3_PfS7_fN6thrust23THRUST_200600_302600_NS4plusIfEEEE10hipError_tPvRmT1_T2_T3_mT4_P12ihipStream_tbEUlT_E0_NS1_11comp_targetILNS1_3genE5ELNS1_11target_archE942ELNS1_3gpuE9ELNS1_3repE0EEENS1_30default_config_static_selectorELNS0_4arch9wavefront6targetE1EEEvSF_.kd
    .uniform_work_group_size: 1
    .uses_dynamic_stack: false
    .vgpr_count:     0
    .vgpr_spill_count: 0
    .wavefront_size: 64
  - .args:
      - .offset:         0
        .size:           56
        .value_kind:     by_value
    .group_segment_fixed_size: 0
    .kernarg_segment_align: 8
    .kernarg_segment_size: 56
    .language:       OpenCL C
    .language_version:
      - 2
      - 0
    .max_flat_workgroup_size: 128
    .name:           _ZN7rocprim17ROCPRIM_400000_NS6detail17trampoline_kernelINS0_14default_configENS1_22reduce_config_selectorIfEEZNS1_11reduce_implILb1ES3_PfS7_fN6thrust23THRUST_200600_302600_NS4plusIfEEEE10hipError_tPvRmT1_T2_T3_mT4_P12ihipStream_tbEUlT_E0_NS1_11comp_targetILNS1_3genE4ELNS1_11target_archE910ELNS1_3gpuE8ELNS1_3repE0EEENS1_30default_config_static_selectorELNS0_4arch9wavefront6targetE1EEEvSF_
    .private_segment_fixed_size: 0
    .sgpr_count:     4
    .sgpr_spill_count: 0
    .symbol:         _ZN7rocprim17ROCPRIM_400000_NS6detail17trampoline_kernelINS0_14default_configENS1_22reduce_config_selectorIfEEZNS1_11reduce_implILb1ES3_PfS7_fN6thrust23THRUST_200600_302600_NS4plusIfEEEE10hipError_tPvRmT1_T2_T3_mT4_P12ihipStream_tbEUlT_E0_NS1_11comp_targetILNS1_3genE4ELNS1_11target_archE910ELNS1_3gpuE8ELNS1_3repE0EEENS1_30default_config_static_selectorELNS0_4arch9wavefront6targetE1EEEvSF_.kd
    .uniform_work_group_size: 1
    .uses_dynamic_stack: false
    .vgpr_count:     0
    .vgpr_spill_count: 0
    .wavefront_size: 64
  - .args:
      - .offset:         0
        .size:           56
        .value_kind:     by_value
    .group_segment_fixed_size: 0
    .kernarg_segment_align: 8
    .kernarg_segment_size: 56
    .language:       OpenCL C
    .language_version:
      - 2
      - 0
    .max_flat_workgroup_size: 256
    .name:           _ZN7rocprim17ROCPRIM_400000_NS6detail17trampoline_kernelINS0_14default_configENS1_22reduce_config_selectorIfEEZNS1_11reduce_implILb1ES3_PfS7_fN6thrust23THRUST_200600_302600_NS4plusIfEEEE10hipError_tPvRmT1_T2_T3_mT4_P12ihipStream_tbEUlT_E0_NS1_11comp_targetILNS1_3genE3ELNS1_11target_archE908ELNS1_3gpuE7ELNS1_3repE0EEENS1_30default_config_static_selectorELNS0_4arch9wavefront6targetE1EEEvSF_
    .private_segment_fixed_size: 0
    .sgpr_count:     4
    .sgpr_spill_count: 0
    .symbol:         _ZN7rocprim17ROCPRIM_400000_NS6detail17trampoline_kernelINS0_14default_configENS1_22reduce_config_selectorIfEEZNS1_11reduce_implILb1ES3_PfS7_fN6thrust23THRUST_200600_302600_NS4plusIfEEEE10hipError_tPvRmT1_T2_T3_mT4_P12ihipStream_tbEUlT_E0_NS1_11comp_targetILNS1_3genE3ELNS1_11target_archE908ELNS1_3gpuE7ELNS1_3repE0EEENS1_30default_config_static_selectorELNS0_4arch9wavefront6targetE1EEEvSF_.kd
    .uniform_work_group_size: 1
    .uses_dynamic_stack: false
    .vgpr_count:     0
    .vgpr_spill_count: 0
    .wavefront_size: 64
  - .args:
      - .offset:         0
        .size:           56
        .value_kind:     by_value
    .group_segment_fixed_size: 32
    .kernarg_segment_align: 8
    .kernarg_segment_size: 56
    .language:       OpenCL C
    .language_version:
      - 2
      - 0
    .max_flat_workgroup_size: 256
    .name:           _ZN7rocprim17ROCPRIM_400000_NS6detail17trampoline_kernelINS0_14default_configENS1_22reduce_config_selectorIfEEZNS1_11reduce_implILb1ES3_PfS7_fN6thrust23THRUST_200600_302600_NS4plusIfEEEE10hipError_tPvRmT1_T2_T3_mT4_P12ihipStream_tbEUlT_E0_NS1_11comp_targetILNS1_3genE2ELNS1_11target_archE906ELNS1_3gpuE6ELNS1_3repE0EEENS1_30default_config_static_selectorELNS0_4arch9wavefront6targetE1EEEvSF_
    .private_segment_fixed_size: 0
    .sgpr_count:     24
    .sgpr_spill_count: 0
    .symbol:         _ZN7rocprim17ROCPRIM_400000_NS6detail17trampoline_kernelINS0_14default_configENS1_22reduce_config_selectorIfEEZNS1_11reduce_implILb1ES3_PfS7_fN6thrust23THRUST_200600_302600_NS4plusIfEEEE10hipError_tPvRmT1_T2_T3_mT4_P12ihipStream_tbEUlT_E0_NS1_11comp_targetILNS1_3genE2ELNS1_11target_archE906ELNS1_3gpuE6ELNS1_3repE0EEENS1_30default_config_static_selectorELNS0_4arch9wavefront6targetE1EEEvSF_.kd
    .uniform_work_group_size: 1
    .uses_dynamic_stack: false
    .vgpr_count:     11
    .vgpr_spill_count: 0
    .wavefront_size: 64
  - .args:
      - .offset:         0
        .size:           56
        .value_kind:     by_value
    .group_segment_fixed_size: 0
    .kernarg_segment_align: 8
    .kernarg_segment_size: 56
    .language:       OpenCL C
    .language_version:
      - 2
      - 0
    .max_flat_workgroup_size: 256
    .name:           _ZN7rocprim17ROCPRIM_400000_NS6detail17trampoline_kernelINS0_14default_configENS1_22reduce_config_selectorIfEEZNS1_11reduce_implILb1ES3_PfS7_fN6thrust23THRUST_200600_302600_NS4plusIfEEEE10hipError_tPvRmT1_T2_T3_mT4_P12ihipStream_tbEUlT_E0_NS1_11comp_targetILNS1_3genE10ELNS1_11target_archE1201ELNS1_3gpuE5ELNS1_3repE0EEENS1_30default_config_static_selectorELNS0_4arch9wavefront6targetE1EEEvSF_
    .private_segment_fixed_size: 0
    .sgpr_count:     4
    .sgpr_spill_count: 0
    .symbol:         _ZN7rocprim17ROCPRIM_400000_NS6detail17trampoline_kernelINS0_14default_configENS1_22reduce_config_selectorIfEEZNS1_11reduce_implILb1ES3_PfS7_fN6thrust23THRUST_200600_302600_NS4plusIfEEEE10hipError_tPvRmT1_T2_T3_mT4_P12ihipStream_tbEUlT_E0_NS1_11comp_targetILNS1_3genE10ELNS1_11target_archE1201ELNS1_3gpuE5ELNS1_3repE0EEENS1_30default_config_static_selectorELNS0_4arch9wavefront6targetE1EEEvSF_.kd
    .uniform_work_group_size: 1
    .uses_dynamic_stack: false
    .vgpr_count:     0
    .vgpr_spill_count: 0
    .wavefront_size: 64
  - .args:
      - .offset:         0
        .size:           56
        .value_kind:     by_value
    .group_segment_fixed_size: 0
    .kernarg_segment_align: 8
    .kernarg_segment_size: 56
    .language:       OpenCL C
    .language_version:
      - 2
      - 0
    .max_flat_workgroup_size: 256
    .name:           _ZN7rocprim17ROCPRIM_400000_NS6detail17trampoline_kernelINS0_14default_configENS1_22reduce_config_selectorIfEEZNS1_11reduce_implILb1ES3_PfS7_fN6thrust23THRUST_200600_302600_NS4plusIfEEEE10hipError_tPvRmT1_T2_T3_mT4_P12ihipStream_tbEUlT_E0_NS1_11comp_targetILNS1_3genE10ELNS1_11target_archE1200ELNS1_3gpuE4ELNS1_3repE0EEENS1_30default_config_static_selectorELNS0_4arch9wavefront6targetE1EEEvSF_
    .private_segment_fixed_size: 0
    .sgpr_count:     4
    .sgpr_spill_count: 0
    .symbol:         _ZN7rocprim17ROCPRIM_400000_NS6detail17trampoline_kernelINS0_14default_configENS1_22reduce_config_selectorIfEEZNS1_11reduce_implILb1ES3_PfS7_fN6thrust23THRUST_200600_302600_NS4plusIfEEEE10hipError_tPvRmT1_T2_T3_mT4_P12ihipStream_tbEUlT_E0_NS1_11comp_targetILNS1_3genE10ELNS1_11target_archE1200ELNS1_3gpuE4ELNS1_3repE0EEENS1_30default_config_static_selectorELNS0_4arch9wavefront6targetE1EEEvSF_.kd
    .uniform_work_group_size: 1
    .uses_dynamic_stack: false
    .vgpr_count:     0
    .vgpr_spill_count: 0
    .wavefront_size: 64
  - .args:
      - .offset:         0
        .size:           56
        .value_kind:     by_value
    .group_segment_fixed_size: 0
    .kernarg_segment_align: 8
    .kernarg_segment_size: 56
    .language:       OpenCL C
    .language_version:
      - 2
      - 0
    .max_flat_workgroup_size: 256
    .name:           _ZN7rocprim17ROCPRIM_400000_NS6detail17trampoline_kernelINS0_14default_configENS1_22reduce_config_selectorIfEEZNS1_11reduce_implILb1ES3_PfS7_fN6thrust23THRUST_200600_302600_NS4plusIfEEEE10hipError_tPvRmT1_T2_T3_mT4_P12ihipStream_tbEUlT_E0_NS1_11comp_targetILNS1_3genE9ELNS1_11target_archE1100ELNS1_3gpuE3ELNS1_3repE0EEENS1_30default_config_static_selectorELNS0_4arch9wavefront6targetE1EEEvSF_
    .private_segment_fixed_size: 0
    .sgpr_count:     4
    .sgpr_spill_count: 0
    .symbol:         _ZN7rocprim17ROCPRIM_400000_NS6detail17trampoline_kernelINS0_14default_configENS1_22reduce_config_selectorIfEEZNS1_11reduce_implILb1ES3_PfS7_fN6thrust23THRUST_200600_302600_NS4plusIfEEEE10hipError_tPvRmT1_T2_T3_mT4_P12ihipStream_tbEUlT_E0_NS1_11comp_targetILNS1_3genE9ELNS1_11target_archE1100ELNS1_3gpuE3ELNS1_3repE0EEENS1_30default_config_static_selectorELNS0_4arch9wavefront6targetE1EEEvSF_.kd
    .uniform_work_group_size: 1
    .uses_dynamic_stack: false
    .vgpr_count:     0
    .vgpr_spill_count: 0
    .wavefront_size: 64
  - .args:
      - .offset:         0
        .size:           56
        .value_kind:     by_value
    .group_segment_fixed_size: 0
    .kernarg_segment_align: 8
    .kernarg_segment_size: 56
    .language:       OpenCL C
    .language_version:
      - 2
      - 0
    .max_flat_workgroup_size: 256
    .name:           _ZN7rocprim17ROCPRIM_400000_NS6detail17trampoline_kernelINS0_14default_configENS1_22reduce_config_selectorIfEEZNS1_11reduce_implILb1ES3_PfS7_fN6thrust23THRUST_200600_302600_NS4plusIfEEEE10hipError_tPvRmT1_T2_T3_mT4_P12ihipStream_tbEUlT_E0_NS1_11comp_targetILNS1_3genE8ELNS1_11target_archE1030ELNS1_3gpuE2ELNS1_3repE0EEENS1_30default_config_static_selectorELNS0_4arch9wavefront6targetE1EEEvSF_
    .private_segment_fixed_size: 0
    .sgpr_count:     4
    .sgpr_spill_count: 0
    .symbol:         _ZN7rocprim17ROCPRIM_400000_NS6detail17trampoline_kernelINS0_14default_configENS1_22reduce_config_selectorIfEEZNS1_11reduce_implILb1ES3_PfS7_fN6thrust23THRUST_200600_302600_NS4plusIfEEEE10hipError_tPvRmT1_T2_T3_mT4_P12ihipStream_tbEUlT_E0_NS1_11comp_targetILNS1_3genE8ELNS1_11target_archE1030ELNS1_3gpuE2ELNS1_3repE0EEENS1_30default_config_static_selectorELNS0_4arch9wavefront6targetE1EEEvSF_.kd
    .uniform_work_group_size: 1
    .uses_dynamic_stack: false
    .vgpr_count:     0
    .vgpr_spill_count: 0
    .wavefront_size: 64
  - .args:
      - .offset:         0
        .size:           40
        .value_kind:     by_value
    .group_segment_fixed_size: 0
    .kernarg_segment_align: 8
    .kernarg_segment_size: 40
    .language:       OpenCL C
    .language_version:
      - 2
      - 0
    .max_flat_workgroup_size: 256
    .name:           _ZN7rocprim17ROCPRIM_400000_NS6detail17trampoline_kernelINS0_14default_configENS1_22reduce_config_selectorIfEEZNS1_11reduce_implILb1ES3_PfS7_fN6thrust23THRUST_200600_302600_NS4plusIfEEEE10hipError_tPvRmT1_T2_T3_mT4_P12ihipStream_tbEUlT_E1_NS1_11comp_targetILNS1_3genE0ELNS1_11target_archE4294967295ELNS1_3gpuE0ELNS1_3repE0EEENS1_30default_config_static_selectorELNS0_4arch9wavefront6targetE1EEEvSF_
    .private_segment_fixed_size: 0
    .sgpr_count:     4
    .sgpr_spill_count: 0
    .symbol:         _ZN7rocprim17ROCPRIM_400000_NS6detail17trampoline_kernelINS0_14default_configENS1_22reduce_config_selectorIfEEZNS1_11reduce_implILb1ES3_PfS7_fN6thrust23THRUST_200600_302600_NS4plusIfEEEE10hipError_tPvRmT1_T2_T3_mT4_P12ihipStream_tbEUlT_E1_NS1_11comp_targetILNS1_3genE0ELNS1_11target_archE4294967295ELNS1_3gpuE0ELNS1_3repE0EEENS1_30default_config_static_selectorELNS0_4arch9wavefront6targetE1EEEvSF_.kd
    .uniform_work_group_size: 1
    .uses_dynamic_stack: false
    .vgpr_count:     0
    .vgpr_spill_count: 0
    .wavefront_size: 64
  - .args:
      - .offset:         0
        .size:           40
        .value_kind:     by_value
    .group_segment_fixed_size: 0
    .kernarg_segment_align: 8
    .kernarg_segment_size: 40
    .language:       OpenCL C
    .language_version:
      - 2
      - 0
    .max_flat_workgroup_size: 128
    .name:           _ZN7rocprim17ROCPRIM_400000_NS6detail17trampoline_kernelINS0_14default_configENS1_22reduce_config_selectorIfEEZNS1_11reduce_implILb1ES3_PfS7_fN6thrust23THRUST_200600_302600_NS4plusIfEEEE10hipError_tPvRmT1_T2_T3_mT4_P12ihipStream_tbEUlT_E1_NS1_11comp_targetILNS1_3genE5ELNS1_11target_archE942ELNS1_3gpuE9ELNS1_3repE0EEENS1_30default_config_static_selectorELNS0_4arch9wavefront6targetE1EEEvSF_
    .private_segment_fixed_size: 0
    .sgpr_count:     4
    .sgpr_spill_count: 0
    .symbol:         _ZN7rocprim17ROCPRIM_400000_NS6detail17trampoline_kernelINS0_14default_configENS1_22reduce_config_selectorIfEEZNS1_11reduce_implILb1ES3_PfS7_fN6thrust23THRUST_200600_302600_NS4plusIfEEEE10hipError_tPvRmT1_T2_T3_mT4_P12ihipStream_tbEUlT_E1_NS1_11comp_targetILNS1_3genE5ELNS1_11target_archE942ELNS1_3gpuE9ELNS1_3repE0EEENS1_30default_config_static_selectorELNS0_4arch9wavefront6targetE1EEEvSF_.kd
    .uniform_work_group_size: 1
    .uses_dynamic_stack: false
    .vgpr_count:     0
    .vgpr_spill_count: 0
    .wavefront_size: 64
  - .args:
      - .offset:         0
        .size:           40
        .value_kind:     by_value
    .group_segment_fixed_size: 0
    .kernarg_segment_align: 8
    .kernarg_segment_size: 40
    .language:       OpenCL C
    .language_version:
      - 2
      - 0
    .max_flat_workgroup_size: 128
    .name:           _ZN7rocprim17ROCPRIM_400000_NS6detail17trampoline_kernelINS0_14default_configENS1_22reduce_config_selectorIfEEZNS1_11reduce_implILb1ES3_PfS7_fN6thrust23THRUST_200600_302600_NS4plusIfEEEE10hipError_tPvRmT1_T2_T3_mT4_P12ihipStream_tbEUlT_E1_NS1_11comp_targetILNS1_3genE4ELNS1_11target_archE910ELNS1_3gpuE8ELNS1_3repE0EEENS1_30default_config_static_selectorELNS0_4arch9wavefront6targetE1EEEvSF_
    .private_segment_fixed_size: 0
    .sgpr_count:     4
    .sgpr_spill_count: 0
    .symbol:         _ZN7rocprim17ROCPRIM_400000_NS6detail17trampoline_kernelINS0_14default_configENS1_22reduce_config_selectorIfEEZNS1_11reduce_implILb1ES3_PfS7_fN6thrust23THRUST_200600_302600_NS4plusIfEEEE10hipError_tPvRmT1_T2_T3_mT4_P12ihipStream_tbEUlT_E1_NS1_11comp_targetILNS1_3genE4ELNS1_11target_archE910ELNS1_3gpuE8ELNS1_3repE0EEENS1_30default_config_static_selectorELNS0_4arch9wavefront6targetE1EEEvSF_.kd
    .uniform_work_group_size: 1
    .uses_dynamic_stack: false
    .vgpr_count:     0
    .vgpr_spill_count: 0
    .wavefront_size: 64
  - .args:
      - .offset:         0
        .size:           40
        .value_kind:     by_value
    .group_segment_fixed_size: 0
    .kernarg_segment_align: 8
    .kernarg_segment_size: 40
    .language:       OpenCL C
    .language_version:
      - 2
      - 0
    .max_flat_workgroup_size: 256
    .name:           _ZN7rocprim17ROCPRIM_400000_NS6detail17trampoline_kernelINS0_14default_configENS1_22reduce_config_selectorIfEEZNS1_11reduce_implILb1ES3_PfS7_fN6thrust23THRUST_200600_302600_NS4plusIfEEEE10hipError_tPvRmT1_T2_T3_mT4_P12ihipStream_tbEUlT_E1_NS1_11comp_targetILNS1_3genE3ELNS1_11target_archE908ELNS1_3gpuE7ELNS1_3repE0EEENS1_30default_config_static_selectorELNS0_4arch9wavefront6targetE1EEEvSF_
    .private_segment_fixed_size: 0
    .sgpr_count:     4
    .sgpr_spill_count: 0
    .symbol:         _ZN7rocprim17ROCPRIM_400000_NS6detail17trampoline_kernelINS0_14default_configENS1_22reduce_config_selectorIfEEZNS1_11reduce_implILb1ES3_PfS7_fN6thrust23THRUST_200600_302600_NS4plusIfEEEE10hipError_tPvRmT1_T2_T3_mT4_P12ihipStream_tbEUlT_E1_NS1_11comp_targetILNS1_3genE3ELNS1_11target_archE908ELNS1_3gpuE7ELNS1_3repE0EEENS1_30default_config_static_selectorELNS0_4arch9wavefront6targetE1EEEvSF_.kd
    .uniform_work_group_size: 1
    .uses_dynamic_stack: false
    .vgpr_count:     0
    .vgpr_spill_count: 0
    .wavefront_size: 64
  - .args:
      - .offset:         0
        .size:           40
        .value_kind:     by_value
    .group_segment_fixed_size: 112
    .kernarg_segment_align: 8
    .kernarg_segment_size: 40
    .language:       OpenCL C
    .language_version:
      - 2
      - 0
    .max_flat_workgroup_size: 256
    .name:           _ZN7rocprim17ROCPRIM_400000_NS6detail17trampoline_kernelINS0_14default_configENS1_22reduce_config_selectorIfEEZNS1_11reduce_implILb1ES3_PfS7_fN6thrust23THRUST_200600_302600_NS4plusIfEEEE10hipError_tPvRmT1_T2_T3_mT4_P12ihipStream_tbEUlT_E1_NS1_11comp_targetILNS1_3genE2ELNS1_11target_archE906ELNS1_3gpuE6ELNS1_3repE0EEENS1_30default_config_static_selectorELNS0_4arch9wavefront6targetE1EEEvSF_
    .private_segment_fixed_size: 0
    .sgpr_count:     81
    .sgpr_spill_count: 0
    .symbol:         _ZN7rocprim17ROCPRIM_400000_NS6detail17trampoline_kernelINS0_14default_configENS1_22reduce_config_selectorIfEEZNS1_11reduce_implILb1ES3_PfS7_fN6thrust23THRUST_200600_302600_NS4plusIfEEEE10hipError_tPvRmT1_T2_T3_mT4_P12ihipStream_tbEUlT_E1_NS1_11comp_targetILNS1_3genE2ELNS1_11target_archE906ELNS1_3gpuE6ELNS1_3repE0EEENS1_30default_config_static_selectorELNS0_4arch9wavefront6targetE1EEEvSF_.kd
    .uniform_work_group_size: 1
    .uses_dynamic_stack: false
    .vgpr_count:     39
    .vgpr_spill_count: 0
    .wavefront_size: 64
  - .args:
      - .offset:         0
        .size:           40
        .value_kind:     by_value
    .group_segment_fixed_size: 0
    .kernarg_segment_align: 8
    .kernarg_segment_size: 40
    .language:       OpenCL C
    .language_version:
      - 2
      - 0
    .max_flat_workgroup_size: 256
    .name:           _ZN7rocprim17ROCPRIM_400000_NS6detail17trampoline_kernelINS0_14default_configENS1_22reduce_config_selectorIfEEZNS1_11reduce_implILb1ES3_PfS7_fN6thrust23THRUST_200600_302600_NS4plusIfEEEE10hipError_tPvRmT1_T2_T3_mT4_P12ihipStream_tbEUlT_E1_NS1_11comp_targetILNS1_3genE10ELNS1_11target_archE1201ELNS1_3gpuE5ELNS1_3repE0EEENS1_30default_config_static_selectorELNS0_4arch9wavefront6targetE1EEEvSF_
    .private_segment_fixed_size: 0
    .sgpr_count:     4
    .sgpr_spill_count: 0
    .symbol:         _ZN7rocprim17ROCPRIM_400000_NS6detail17trampoline_kernelINS0_14default_configENS1_22reduce_config_selectorIfEEZNS1_11reduce_implILb1ES3_PfS7_fN6thrust23THRUST_200600_302600_NS4plusIfEEEE10hipError_tPvRmT1_T2_T3_mT4_P12ihipStream_tbEUlT_E1_NS1_11comp_targetILNS1_3genE10ELNS1_11target_archE1201ELNS1_3gpuE5ELNS1_3repE0EEENS1_30default_config_static_selectorELNS0_4arch9wavefront6targetE1EEEvSF_.kd
    .uniform_work_group_size: 1
    .uses_dynamic_stack: false
    .vgpr_count:     0
    .vgpr_spill_count: 0
    .wavefront_size: 64
  - .args:
      - .offset:         0
        .size:           40
        .value_kind:     by_value
    .group_segment_fixed_size: 0
    .kernarg_segment_align: 8
    .kernarg_segment_size: 40
    .language:       OpenCL C
    .language_version:
      - 2
      - 0
    .max_flat_workgroup_size: 256
    .name:           _ZN7rocprim17ROCPRIM_400000_NS6detail17trampoline_kernelINS0_14default_configENS1_22reduce_config_selectorIfEEZNS1_11reduce_implILb1ES3_PfS7_fN6thrust23THRUST_200600_302600_NS4plusIfEEEE10hipError_tPvRmT1_T2_T3_mT4_P12ihipStream_tbEUlT_E1_NS1_11comp_targetILNS1_3genE10ELNS1_11target_archE1200ELNS1_3gpuE4ELNS1_3repE0EEENS1_30default_config_static_selectorELNS0_4arch9wavefront6targetE1EEEvSF_
    .private_segment_fixed_size: 0
    .sgpr_count:     4
    .sgpr_spill_count: 0
    .symbol:         _ZN7rocprim17ROCPRIM_400000_NS6detail17trampoline_kernelINS0_14default_configENS1_22reduce_config_selectorIfEEZNS1_11reduce_implILb1ES3_PfS7_fN6thrust23THRUST_200600_302600_NS4plusIfEEEE10hipError_tPvRmT1_T2_T3_mT4_P12ihipStream_tbEUlT_E1_NS1_11comp_targetILNS1_3genE10ELNS1_11target_archE1200ELNS1_3gpuE4ELNS1_3repE0EEENS1_30default_config_static_selectorELNS0_4arch9wavefront6targetE1EEEvSF_.kd
    .uniform_work_group_size: 1
    .uses_dynamic_stack: false
    .vgpr_count:     0
    .vgpr_spill_count: 0
    .wavefront_size: 64
  - .args:
      - .offset:         0
        .size:           40
        .value_kind:     by_value
    .group_segment_fixed_size: 0
    .kernarg_segment_align: 8
    .kernarg_segment_size: 40
    .language:       OpenCL C
    .language_version:
      - 2
      - 0
    .max_flat_workgroup_size: 256
    .name:           _ZN7rocprim17ROCPRIM_400000_NS6detail17trampoline_kernelINS0_14default_configENS1_22reduce_config_selectorIfEEZNS1_11reduce_implILb1ES3_PfS7_fN6thrust23THRUST_200600_302600_NS4plusIfEEEE10hipError_tPvRmT1_T2_T3_mT4_P12ihipStream_tbEUlT_E1_NS1_11comp_targetILNS1_3genE9ELNS1_11target_archE1100ELNS1_3gpuE3ELNS1_3repE0EEENS1_30default_config_static_selectorELNS0_4arch9wavefront6targetE1EEEvSF_
    .private_segment_fixed_size: 0
    .sgpr_count:     4
    .sgpr_spill_count: 0
    .symbol:         _ZN7rocprim17ROCPRIM_400000_NS6detail17trampoline_kernelINS0_14default_configENS1_22reduce_config_selectorIfEEZNS1_11reduce_implILb1ES3_PfS7_fN6thrust23THRUST_200600_302600_NS4plusIfEEEE10hipError_tPvRmT1_T2_T3_mT4_P12ihipStream_tbEUlT_E1_NS1_11comp_targetILNS1_3genE9ELNS1_11target_archE1100ELNS1_3gpuE3ELNS1_3repE0EEENS1_30default_config_static_selectorELNS0_4arch9wavefront6targetE1EEEvSF_.kd
    .uniform_work_group_size: 1
    .uses_dynamic_stack: false
    .vgpr_count:     0
    .vgpr_spill_count: 0
    .wavefront_size: 64
  - .args:
      - .offset:         0
        .size:           40
        .value_kind:     by_value
    .group_segment_fixed_size: 0
    .kernarg_segment_align: 8
    .kernarg_segment_size: 40
    .language:       OpenCL C
    .language_version:
      - 2
      - 0
    .max_flat_workgroup_size: 256
    .name:           _ZN7rocprim17ROCPRIM_400000_NS6detail17trampoline_kernelINS0_14default_configENS1_22reduce_config_selectorIfEEZNS1_11reduce_implILb1ES3_PfS7_fN6thrust23THRUST_200600_302600_NS4plusIfEEEE10hipError_tPvRmT1_T2_T3_mT4_P12ihipStream_tbEUlT_E1_NS1_11comp_targetILNS1_3genE8ELNS1_11target_archE1030ELNS1_3gpuE2ELNS1_3repE0EEENS1_30default_config_static_selectorELNS0_4arch9wavefront6targetE1EEEvSF_
    .private_segment_fixed_size: 0
    .sgpr_count:     4
    .sgpr_spill_count: 0
    .symbol:         _ZN7rocprim17ROCPRIM_400000_NS6detail17trampoline_kernelINS0_14default_configENS1_22reduce_config_selectorIfEEZNS1_11reduce_implILb1ES3_PfS7_fN6thrust23THRUST_200600_302600_NS4plusIfEEEE10hipError_tPvRmT1_T2_T3_mT4_P12ihipStream_tbEUlT_E1_NS1_11comp_targetILNS1_3genE8ELNS1_11target_archE1030ELNS1_3gpuE2ELNS1_3repE0EEENS1_30default_config_static_selectorELNS0_4arch9wavefront6targetE1EEEvSF_.kd
    .uniform_work_group_size: 1
    .uses_dynamic_stack: false
    .vgpr_count:     0
    .vgpr_spill_count: 0
    .wavefront_size: 64
  - .args:
      - .offset:         0
        .size:           56
        .value_kind:     by_value
    .group_segment_fixed_size: 0
    .kernarg_segment_align: 8
    .kernarg_segment_size: 56
    .language:       OpenCL C
    .language_version:
      - 2
      - 0
    .max_flat_workgroup_size: 256
    .name:           _ZN7rocprim17ROCPRIM_400000_NS6detail17trampoline_kernelINS0_14default_configENS1_22reduce_config_selectorIfEEZNS1_11reduce_implILb1ES3_N6thrust23THRUST_200600_302600_NS11hip_rocprim26transform_input_iterator_tIfNS8_17counting_iteratorIiNS8_11use_defaultESC_SC_EE11estimate_piEEPffNS8_4plusIfEEEE10hipError_tPvRmT1_T2_T3_mT4_P12ihipStream_tbEUlT_E0_NS1_11comp_targetILNS1_3genE0ELNS1_11target_archE4294967295ELNS1_3gpuE0ELNS1_3repE0EEENS1_30default_config_static_selectorELNS0_4arch9wavefront6targetE1EEEvSM_
    .private_segment_fixed_size: 0
    .sgpr_count:     4
    .sgpr_spill_count: 0
    .symbol:         _ZN7rocprim17ROCPRIM_400000_NS6detail17trampoline_kernelINS0_14default_configENS1_22reduce_config_selectorIfEEZNS1_11reduce_implILb1ES3_N6thrust23THRUST_200600_302600_NS11hip_rocprim26transform_input_iterator_tIfNS8_17counting_iteratorIiNS8_11use_defaultESC_SC_EE11estimate_piEEPffNS8_4plusIfEEEE10hipError_tPvRmT1_T2_T3_mT4_P12ihipStream_tbEUlT_E0_NS1_11comp_targetILNS1_3genE0ELNS1_11target_archE4294967295ELNS1_3gpuE0ELNS1_3repE0EEENS1_30default_config_static_selectorELNS0_4arch9wavefront6targetE1EEEvSM_.kd
    .uniform_work_group_size: 1
    .uses_dynamic_stack: false
    .vgpr_count:     0
    .vgpr_spill_count: 0
    .wavefront_size: 64
  - .args:
      - .offset:         0
        .size:           56
        .value_kind:     by_value
    .group_segment_fixed_size: 0
    .kernarg_segment_align: 8
    .kernarg_segment_size: 56
    .language:       OpenCL C
    .language_version:
      - 2
      - 0
    .max_flat_workgroup_size: 128
    .name:           _ZN7rocprim17ROCPRIM_400000_NS6detail17trampoline_kernelINS0_14default_configENS1_22reduce_config_selectorIfEEZNS1_11reduce_implILb1ES3_N6thrust23THRUST_200600_302600_NS11hip_rocprim26transform_input_iterator_tIfNS8_17counting_iteratorIiNS8_11use_defaultESC_SC_EE11estimate_piEEPffNS8_4plusIfEEEE10hipError_tPvRmT1_T2_T3_mT4_P12ihipStream_tbEUlT_E0_NS1_11comp_targetILNS1_3genE5ELNS1_11target_archE942ELNS1_3gpuE9ELNS1_3repE0EEENS1_30default_config_static_selectorELNS0_4arch9wavefront6targetE1EEEvSM_
    .private_segment_fixed_size: 0
    .sgpr_count:     4
    .sgpr_spill_count: 0
    .symbol:         _ZN7rocprim17ROCPRIM_400000_NS6detail17trampoline_kernelINS0_14default_configENS1_22reduce_config_selectorIfEEZNS1_11reduce_implILb1ES3_N6thrust23THRUST_200600_302600_NS11hip_rocprim26transform_input_iterator_tIfNS8_17counting_iteratorIiNS8_11use_defaultESC_SC_EE11estimate_piEEPffNS8_4plusIfEEEE10hipError_tPvRmT1_T2_T3_mT4_P12ihipStream_tbEUlT_E0_NS1_11comp_targetILNS1_3genE5ELNS1_11target_archE942ELNS1_3gpuE9ELNS1_3repE0EEENS1_30default_config_static_selectorELNS0_4arch9wavefront6targetE1EEEvSM_.kd
    .uniform_work_group_size: 1
    .uses_dynamic_stack: false
    .vgpr_count:     0
    .vgpr_spill_count: 0
    .wavefront_size: 64
  - .args:
      - .offset:         0
        .size:           56
        .value_kind:     by_value
    .group_segment_fixed_size: 0
    .kernarg_segment_align: 8
    .kernarg_segment_size: 56
    .language:       OpenCL C
    .language_version:
      - 2
      - 0
    .max_flat_workgroup_size: 128
    .name:           _ZN7rocprim17ROCPRIM_400000_NS6detail17trampoline_kernelINS0_14default_configENS1_22reduce_config_selectorIfEEZNS1_11reduce_implILb1ES3_N6thrust23THRUST_200600_302600_NS11hip_rocprim26transform_input_iterator_tIfNS8_17counting_iteratorIiNS8_11use_defaultESC_SC_EE11estimate_piEEPffNS8_4plusIfEEEE10hipError_tPvRmT1_T2_T3_mT4_P12ihipStream_tbEUlT_E0_NS1_11comp_targetILNS1_3genE4ELNS1_11target_archE910ELNS1_3gpuE8ELNS1_3repE0EEENS1_30default_config_static_selectorELNS0_4arch9wavefront6targetE1EEEvSM_
    .private_segment_fixed_size: 0
    .sgpr_count:     4
    .sgpr_spill_count: 0
    .symbol:         _ZN7rocprim17ROCPRIM_400000_NS6detail17trampoline_kernelINS0_14default_configENS1_22reduce_config_selectorIfEEZNS1_11reduce_implILb1ES3_N6thrust23THRUST_200600_302600_NS11hip_rocprim26transform_input_iterator_tIfNS8_17counting_iteratorIiNS8_11use_defaultESC_SC_EE11estimate_piEEPffNS8_4plusIfEEEE10hipError_tPvRmT1_T2_T3_mT4_P12ihipStream_tbEUlT_E0_NS1_11comp_targetILNS1_3genE4ELNS1_11target_archE910ELNS1_3gpuE8ELNS1_3repE0EEENS1_30default_config_static_selectorELNS0_4arch9wavefront6targetE1EEEvSM_.kd
    .uniform_work_group_size: 1
    .uses_dynamic_stack: false
    .vgpr_count:     0
    .vgpr_spill_count: 0
    .wavefront_size: 64
  - .args:
      - .offset:         0
        .size:           56
        .value_kind:     by_value
    .group_segment_fixed_size: 0
    .kernarg_segment_align: 8
    .kernarg_segment_size: 56
    .language:       OpenCL C
    .language_version:
      - 2
      - 0
    .max_flat_workgroup_size: 256
    .name:           _ZN7rocprim17ROCPRIM_400000_NS6detail17trampoline_kernelINS0_14default_configENS1_22reduce_config_selectorIfEEZNS1_11reduce_implILb1ES3_N6thrust23THRUST_200600_302600_NS11hip_rocprim26transform_input_iterator_tIfNS8_17counting_iteratorIiNS8_11use_defaultESC_SC_EE11estimate_piEEPffNS8_4plusIfEEEE10hipError_tPvRmT1_T2_T3_mT4_P12ihipStream_tbEUlT_E0_NS1_11comp_targetILNS1_3genE3ELNS1_11target_archE908ELNS1_3gpuE7ELNS1_3repE0EEENS1_30default_config_static_selectorELNS0_4arch9wavefront6targetE1EEEvSM_
    .private_segment_fixed_size: 0
    .sgpr_count:     4
    .sgpr_spill_count: 0
    .symbol:         _ZN7rocprim17ROCPRIM_400000_NS6detail17trampoline_kernelINS0_14default_configENS1_22reduce_config_selectorIfEEZNS1_11reduce_implILb1ES3_N6thrust23THRUST_200600_302600_NS11hip_rocprim26transform_input_iterator_tIfNS8_17counting_iteratorIiNS8_11use_defaultESC_SC_EE11estimate_piEEPffNS8_4plusIfEEEE10hipError_tPvRmT1_T2_T3_mT4_P12ihipStream_tbEUlT_E0_NS1_11comp_targetILNS1_3genE3ELNS1_11target_archE908ELNS1_3gpuE7ELNS1_3repE0EEENS1_30default_config_static_selectorELNS0_4arch9wavefront6targetE1EEEvSM_.kd
    .uniform_work_group_size: 1
    .uses_dynamic_stack: false
    .vgpr_count:     0
    .vgpr_spill_count: 0
    .wavefront_size: 64
  - .args:
      - .offset:         0
        .size:           56
        .value_kind:     by_value
    .group_segment_fixed_size: 32
    .kernarg_segment_align: 8
    .kernarg_segment_size: 56
    .language:       OpenCL C
    .language_version:
      - 2
      - 0
    .max_flat_workgroup_size: 256
    .name:           _ZN7rocprim17ROCPRIM_400000_NS6detail17trampoline_kernelINS0_14default_configENS1_22reduce_config_selectorIfEEZNS1_11reduce_implILb1ES3_N6thrust23THRUST_200600_302600_NS11hip_rocprim26transform_input_iterator_tIfNS8_17counting_iteratorIiNS8_11use_defaultESC_SC_EE11estimate_piEEPffNS8_4plusIfEEEE10hipError_tPvRmT1_T2_T3_mT4_P12ihipStream_tbEUlT_E0_NS1_11comp_targetILNS1_3genE2ELNS1_11target_archE906ELNS1_3gpuE6ELNS1_3repE0EEENS1_30default_config_static_selectorELNS0_4arch9wavefront6targetE1EEEvSM_
    .private_segment_fixed_size: 0
    .sgpr_count:     31
    .sgpr_spill_count: 0
    .symbol:         _ZN7rocprim17ROCPRIM_400000_NS6detail17trampoline_kernelINS0_14default_configENS1_22reduce_config_selectorIfEEZNS1_11reduce_implILb1ES3_N6thrust23THRUST_200600_302600_NS11hip_rocprim26transform_input_iterator_tIfNS8_17counting_iteratorIiNS8_11use_defaultESC_SC_EE11estimate_piEEPffNS8_4plusIfEEEE10hipError_tPvRmT1_T2_T3_mT4_P12ihipStream_tbEUlT_E0_NS1_11comp_targetILNS1_3genE2ELNS1_11target_archE906ELNS1_3gpuE6ELNS1_3repE0EEENS1_30default_config_static_selectorELNS0_4arch9wavefront6targetE1EEEvSM_.kd
    .uniform_work_group_size: 1
    .uses_dynamic_stack: false
    .vgpr_count:     16
    .vgpr_spill_count: 0
    .wavefront_size: 64
  - .args:
      - .offset:         0
        .size:           56
        .value_kind:     by_value
    .group_segment_fixed_size: 0
    .kernarg_segment_align: 8
    .kernarg_segment_size: 56
    .language:       OpenCL C
    .language_version:
      - 2
      - 0
    .max_flat_workgroup_size: 256
    .name:           _ZN7rocprim17ROCPRIM_400000_NS6detail17trampoline_kernelINS0_14default_configENS1_22reduce_config_selectorIfEEZNS1_11reduce_implILb1ES3_N6thrust23THRUST_200600_302600_NS11hip_rocprim26transform_input_iterator_tIfNS8_17counting_iteratorIiNS8_11use_defaultESC_SC_EE11estimate_piEEPffNS8_4plusIfEEEE10hipError_tPvRmT1_T2_T3_mT4_P12ihipStream_tbEUlT_E0_NS1_11comp_targetILNS1_3genE10ELNS1_11target_archE1201ELNS1_3gpuE5ELNS1_3repE0EEENS1_30default_config_static_selectorELNS0_4arch9wavefront6targetE1EEEvSM_
    .private_segment_fixed_size: 0
    .sgpr_count:     4
    .sgpr_spill_count: 0
    .symbol:         _ZN7rocprim17ROCPRIM_400000_NS6detail17trampoline_kernelINS0_14default_configENS1_22reduce_config_selectorIfEEZNS1_11reduce_implILb1ES3_N6thrust23THRUST_200600_302600_NS11hip_rocprim26transform_input_iterator_tIfNS8_17counting_iteratorIiNS8_11use_defaultESC_SC_EE11estimate_piEEPffNS8_4plusIfEEEE10hipError_tPvRmT1_T2_T3_mT4_P12ihipStream_tbEUlT_E0_NS1_11comp_targetILNS1_3genE10ELNS1_11target_archE1201ELNS1_3gpuE5ELNS1_3repE0EEENS1_30default_config_static_selectorELNS0_4arch9wavefront6targetE1EEEvSM_.kd
    .uniform_work_group_size: 1
    .uses_dynamic_stack: false
    .vgpr_count:     0
    .vgpr_spill_count: 0
    .wavefront_size: 64
  - .args:
      - .offset:         0
        .size:           56
        .value_kind:     by_value
    .group_segment_fixed_size: 0
    .kernarg_segment_align: 8
    .kernarg_segment_size: 56
    .language:       OpenCL C
    .language_version:
      - 2
      - 0
    .max_flat_workgroup_size: 256
    .name:           _ZN7rocprim17ROCPRIM_400000_NS6detail17trampoline_kernelINS0_14default_configENS1_22reduce_config_selectorIfEEZNS1_11reduce_implILb1ES3_N6thrust23THRUST_200600_302600_NS11hip_rocprim26transform_input_iterator_tIfNS8_17counting_iteratorIiNS8_11use_defaultESC_SC_EE11estimate_piEEPffNS8_4plusIfEEEE10hipError_tPvRmT1_T2_T3_mT4_P12ihipStream_tbEUlT_E0_NS1_11comp_targetILNS1_3genE10ELNS1_11target_archE1200ELNS1_3gpuE4ELNS1_3repE0EEENS1_30default_config_static_selectorELNS0_4arch9wavefront6targetE1EEEvSM_
    .private_segment_fixed_size: 0
    .sgpr_count:     4
    .sgpr_spill_count: 0
    .symbol:         _ZN7rocprim17ROCPRIM_400000_NS6detail17trampoline_kernelINS0_14default_configENS1_22reduce_config_selectorIfEEZNS1_11reduce_implILb1ES3_N6thrust23THRUST_200600_302600_NS11hip_rocprim26transform_input_iterator_tIfNS8_17counting_iteratorIiNS8_11use_defaultESC_SC_EE11estimate_piEEPffNS8_4plusIfEEEE10hipError_tPvRmT1_T2_T3_mT4_P12ihipStream_tbEUlT_E0_NS1_11comp_targetILNS1_3genE10ELNS1_11target_archE1200ELNS1_3gpuE4ELNS1_3repE0EEENS1_30default_config_static_selectorELNS0_4arch9wavefront6targetE1EEEvSM_.kd
    .uniform_work_group_size: 1
    .uses_dynamic_stack: false
    .vgpr_count:     0
    .vgpr_spill_count: 0
    .wavefront_size: 64
  - .args:
      - .offset:         0
        .size:           56
        .value_kind:     by_value
    .group_segment_fixed_size: 0
    .kernarg_segment_align: 8
    .kernarg_segment_size: 56
    .language:       OpenCL C
    .language_version:
      - 2
      - 0
    .max_flat_workgroup_size: 256
    .name:           _ZN7rocprim17ROCPRIM_400000_NS6detail17trampoline_kernelINS0_14default_configENS1_22reduce_config_selectorIfEEZNS1_11reduce_implILb1ES3_N6thrust23THRUST_200600_302600_NS11hip_rocprim26transform_input_iterator_tIfNS8_17counting_iteratorIiNS8_11use_defaultESC_SC_EE11estimate_piEEPffNS8_4plusIfEEEE10hipError_tPvRmT1_T2_T3_mT4_P12ihipStream_tbEUlT_E0_NS1_11comp_targetILNS1_3genE9ELNS1_11target_archE1100ELNS1_3gpuE3ELNS1_3repE0EEENS1_30default_config_static_selectorELNS0_4arch9wavefront6targetE1EEEvSM_
    .private_segment_fixed_size: 0
    .sgpr_count:     4
    .sgpr_spill_count: 0
    .symbol:         _ZN7rocprim17ROCPRIM_400000_NS6detail17trampoline_kernelINS0_14default_configENS1_22reduce_config_selectorIfEEZNS1_11reduce_implILb1ES3_N6thrust23THRUST_200600_302600_NS11hip_rocprim26transform_input_iterator_tIfNS8_17counting_iteratorIiNS8_11use_defaultESC_SC_EE11estimate_piEEPffNS8_4plusIfEEEE10hipError_tPvRmT1_T2_T3_mT4_P12ihipStream_tbEUlT_E0_NS1_11comp_targetILNS1_3genE9ELNS1_11target_archE1100ELNS1_3gpuE3ELNS1_3repE0EEENS1_30default_config_static_selectorELNS0_4arch9wavefront6targetE1EEEvSM_.kd
    .uniform_work_group_size: 1
    .uses_dynamic_stack: false
    .vgpr_count:     0
    .vgpr_spill_count: 0
    .wavefront_size: 64
  - .args:
      - .offset:         0
        .size:           56
        .value_kind:     by_value
    .group_segment_fixed_size: 0
    .kernarg_segment_align: 8
    .kernarg_segment_size: 56
    .language:       OpenCL C
    .language_version:
      - 2
      - 0
    .max_flat_workgroup_size: 256
    .name:           _ZN7rocprim17ROCPRIM_400000_NS6detail17trampoline_kernelINS0_14default_configENS1_22reduce_config_selectorIfEEZNS1_11reduce_implILb1ES3_N6thrust23THRUST_200600_302600_NS11hip_rocprim26transform_input_iterator_tIfNS8_17counting_iteratorIiNS8_11use_defaultESC_SC_EE11estimate_piEEPffNS8_4plusIfEEEE10hipError_tPvRmT1_T2_T3_mT4_P12ihipStream_tbEUlT_E0_NS1_11comp_targetILNS1_3genE8ELNS1_11target_archE1030ELNS1_3gpuE2ELNS1_3repE0EEENS1_30default_config_static_selectorELNS0_4arch9wavefront6targetE1EEEvSM_
    .private_segment_fixed_size: 0
    .sgpr_count:     4
    .sgpr_spill_count: 0
    .symbol:         _ZN7rocprim17ROCPRIM_400000_NS6detail17trampoline_kernelINS0_14default_configENS1_22reduce_config_selectorIfEEZNS1_11reduce_implILb1ES3_N6thrust23THRUST_200600_302600_NS11hip_rocprim26transform_input_iterator_tIfNS8_17counting_iteratorIiNS8_11use_defaultESC_SC_EE11estimate_piEEPffNS8_4plusIfEEEE10hipError_tPvRmT1_T2_T3_mT4_P12ihipStream_tbEUlT_E0_NS1_11comp_targetILNS1_3genE8ELNS1_11target_archE1030ELNS1_3gpuE2ELNS1_3repE0EEENS1_30default_config_static_selectorELNS0_4arch9wavefront6targetE1EEEvSM_.kd
    .uniform_work_group_size: 1
    .uses_dynamic_stack: false
    .vgpr_count:     0
    .vgpr_spill_count: 0
    .wavefront_size: 64
  - .args:
      - .offset:         0
        .size:           40
        .value_kind:     by_value
    .group_segment_fixed_size: 0
    .kernarg_segment_align: 8
    .kernarg_segment_size: 40
    .language:       OpenCL C
    .language_version:
      - 2
      - 0
    .max_flat_workgroup_size: 256
    .name:           _ZN7rocprim17ROCPRIM_400000_NS6detail17trampoline_kernelINS0_14default_configENS1_22reduce_config_selectorIfEEZNS1_11reduce_implILb1ES3_N6thrust23THRUST_200600_302600_NS11hip_rocprim26transform_input_iterator_tIfNS8_17counting_iteratorIiNS8_11use_defaultESC_SC_EE11estimate_piEEPffNS8_4plusIfEEEE10hipError_tPvRmT1_T2_T3_mT4_P12ihipStream_tbEUlT_E1_NS1_11comp_targetILNS1_3genE0ELNS1_11target_archE4294967295ELNS1_3gpuE0ELNS1_3repE0EEENS1_30default_config_static_selectorELNS0_4arch9wavefront6targetE1EEEvSM_
    .private_segment_fixed_size: 0
    .sgpr_count:     4
    .sgpr_spill_count: 0
    .symbol:         _ZN7rocprim17ROCPRIM_400000_NS6detail17trampoline_kernelINS0_14default_configENS1_22reduce_config_selectorIfEEZNS1_11reduce_implILb1ES3_N6thrust23THRUST_200600_302600_NS11hip_rocprim26transform_input_iterator_tIfNS8_17counting_iteratorIiNS8_11use_defaultESC_SC_EE11estimate_piEEPffNS8_4plusIfEEEE10hipError_tPvRmT1_T2_T3_mT4_P12ihipStream_tbEUlT_E1_NS1_11comp_targetILNS1_3genE0ELNS1_11target_archE4294967295ELNS1_3gpuE0ELNS1_3repE0EEENS1_30default_config_static_selectorELNS0_4arch9wavefront6targetE1EEEvSM_.kd
    .uniform_work_group_size: 1
    .uses_dynamic_stack: false
    .vgpr_count:     0
    .vgpr_spill_count: 0
    .wavefront_size: 64
  - .args:
      - .offset:         0
        .size:           40
        .value_kind:     by_value
    .group_segment_fixed_size: 0
    .kernarg_segment_align: 8
    .kernarg_segment_size: 40
    .language:       OpenCL C
    .language_version:
      - 2
      - 0
    .max_flat_workgroup_size: 128
    .name:           _ZN7rocprim17ROCPRIM_400000_NS6detail17trampoline_kernelINS0_14default_configENS1_22reduce_config_selectorIfEEZNS1_11reduce_implILb1ES3_N6thrust23THRUST_200600_302600_NS11hip_rocprim26transform_input_iterator_tIfNS8_17counting_iteratorIiNS8_11use_defaultESC_SC_EE11estimate_piEEPffNS8_4plusIfEEEE10hipError_tPvRmT1_T2_T3_mT4_P12ihipStream_tbEUlT_E1_NS1_11comp_targetILNS1_3genE5ELNS1_11target_archE942ELNS1_3gpuE9ELNS1_3repE0EEENS1_30default_config_static_selectorELNS0_4arch9wavefront6targetE1EEEvSM_
    .private_segment_fixed_size: 0
    .sgpr_count:     4
    .sgpr_spill_count: 0
    .symbol:         _ZN7rocprim17ROCPRIM_400000_NS6detail17trampoline_kernelINS0_14default_configENS1_22reduce_config_selectorIfEEZNS1_11reduce_implILb1ES3_N6thrust23THRUST_200600_302600_NS11hip_rocprim26transform_input_iterator_tIfNS8_17counting_iteratorIiNS8_11use_defaultESC_SC_EE11estimate_piEEPffNS8_4plusIfEEEE10hipError_tPvRmT1_T2_T3_mT4_P12ihipStream_tbEUlT_E1_NS1_11comp_targetILNS1_3genE5ELNS1_11target_archE942ELNS1_3gpuE9ELNS1_3repE0EEENS1_30default_config_static_selectorELNS0_4arch9wavefront6targetE1EEEvSM_.kd
    .uniform_work_group_size: 1
    .uses_dynamic_stack: false
    .vgpr_count:     0
    .vgpr_spill_count: 0
    .wavefront_size: 64
  - .args:
      - .offset:         0
        .size:           40
        .value_kind:     by_value
    .group_segment_fixed_size: 0
    .kernarg_segment_align: 8
    .kernarg_segment_size: 40
    .language:       OpenCL C
    .language_version:
      - 2
      - 0
    .max_flat_workgroup_size: 128
    .name:           _ZN7rocprim17ROCPRIM_400000_NS6detail17trampoline_kernelINS0_14default_configENS1_22reduce_config_selectorIfEEZNS1_11reduce_implILb1ES3_N6thrust23THRUST_200600_302600_NS11hip_rocprim26transform_input_iterator_tIfNS8_17counting_iteratorIiNS8_11use_defaultESC_SC_EE11estimate_piEEPffNS8_4plusIfEEEE10hipError_tPvRmT1_T2_T3_mT4_P12ihipStream_tbEUlT_E1_NS1_11comp_targetILNS1_3genE4ELNS1_11target_archE910ELNS1_3gpuE8ELNS1_3repE0EEENS1_30default_config_static_selectorELNS0_4arch9wavefront6targetE1EEEvSM_
    .private_segment_fixed_size: 0
    .sgpr_count:     4
    .sgpr_spill_count: 0
    .symbol:         _ZN7rocprim17ROCPRIM_400000_NS6detail17trampoline_kernelINS0_14default_configENS1_22reduce_config_selectorIfEEZNS1_11reduce_implILb1ES3_N6thrust23THRUST_200600_302600_NS11hip_rocprim26transform_input_iterator_tIfNS8_17counting_iteratorIiNS8_11use_defaultESC_SC_EE11estimate_piEEPffNS8_4plusIfEEEE10hipError_tPvRmT1_T2_T3_mT4_P12ihipStream_tbEUlT_E1_NS1_11comp_targetILNS1_3genE4ELNS1_11target_archE910ELNS1_3gpuE8ELNS1_3repE0EEENS1_30default_config_static_selectorELNS0_4arch9wavefront6targetE1EEEvSM_.kd
    .uniform_work_group_size: 1
    .uses_dynamic_stack: false
    .vgpr_count:     0
    .vgpr_spill_count: 0
    .wavefront_size: 64
  - .args:
      - .offset:         0
        .size:           40
        .value_kind:     by_value
    .group_segment_fixed_size: 0
    .kernarg_segment_align: 8
    .kernarg_segment_size: 40
    .language:       OpenCL C
    .language_version:
      - 2
      - 0
    .max_flat_workgroup_size: 256
    .name:           _ZN7rocprim17ROCPRIM_400000_NS6detail17trampoline_kernelINS0_14default_configENS1_22reduce_config_selectorIfEEZNS1_11reduce_implILb1ES3_N6thrust23THRUST_200600_302600_NS11hip_rocprim26transform_input_iterator_tIfNS8_17counting_iteratorIiNS8_11use_defaultESC_SC_EE11estimate_piEEPffNS8_4plusIfEEEE10hipError_tPvRmT1_T2_T3_mT4_P12ihipStream_tbEUlT_E1_NS1_11comp_targetILNS1_3genE3ELNS1_11target_archE908ELNS1_3gpuE7ELNS1_3repE0EEENS1_30default_config_static_selectorELNS0_4arch9wavefront6targetE1EEEvSM_
    .private_segment_fixed_size: 0
    .sgpr_count:     4
    .sgpr_spill_count: 0
    .symbol:         _ZN7rocprim17ROCPRIM_400000_NS6detail17trampoline_kernelINS0_14default_configENS1_22reduce_config_selectorIfEEZNS1_11reduce_implILb1ES3_N6thrust23THRUST_200600_302600_NS11hip_rocprim26transform_input_iterator_tIfNS8_17counting_iteratorIiNS8_11use_defaultESC_SC_EE11estimate_piEEPffNS8_4plusIfEEEE10hipError_tPvRmT1_T2_T3_mT4_P12ihipStream_tbEUlT_E1_NS1_11comp_targetILNS1_3genE3ELNS1_11target_archE908ELNS1_3gpuE7ELNS1_3repE0EEENS1_30default_config_static_selectorELNS0_4arch9wavefront6targetE1EEEvSM_.kd
    .uniform_work_group_size: 1
    .uses_dynamic_stack: false
    .vgpr_count:     0
    .vgpr_spill_count: 0
    .wavefront_size: 64
  - .args:
      - .offset:         0
        .size:           40
        .value_kind:     by_value
    .group_segment_fixed_size: 112
    .kernarg_segment_align: 8
    .kernarg_segment_size: 40
    .language:       OpenCL C
    .language_version:
      - 2
      - 0
    .max_flat_workgroup_size: 256
    .name:           _ZN7rocprim17ROCPRIM_400000_NS6detail17trampoline_kernelINS0_14default_configENS1_22reduce_config_selectorIfEEZNS1_11reduce_implILb1ES3_N6thrust23THRUST_200600_302600_NS11hip_rocprim26transform_input_iterator_tIfNS8_17counting_iteratorIiNS8_11use_defaultESC_SC_EE11estimate_piEEPffNS8_4plusIfEEEE10hipError_tPvRmT1_T2_T3_mT4_P12ihipStream_tbEUlT_E1_NS1_11comp_targetILNS1_3genE2ELNS1_11target_archE906ELNS1_3gpuE6ELNS1_3repE0EEENS1_30default_config_static_selectorELNS0_4arch9wavefront6targetE1EEEvSM_
    .private_segment_fixed_size: 0
    .sgpr_count:     89
    .sgpr_spill_count: 0
    .symbol:         _ZN7rocprim17ROCPRIM_400000_NS6detail17trampoline_kernelINS0_14default_configENS1_22reduce_config_selectorIfEEZNS1_11reduce_implILb1ES3_N6thrust23THRUST_200600_302600_NS11hip_rocprim26transform_input_iterator_tIfNS8_17counting_iteratorIiNS8_11use_defaultESC_SC_EE11estimate_piEEPffNS8_4plusIfEEEE10hipError_tPvRmT1_T2_T3_mT4_P12ihipStream_tbEUlT_E1_NS1_11comp_targetILNS1_3genE2ELNS1_11target_archE906ELNS1_3gpuE6ELNS1_3repE0EEENS1_30default_config_static_selectorELNS0_4arch9wavefront6targetE1EEEvSM_.kd
    .uniform_work_group_size: 1
    .uses_dynamic_stack: false
    .vgpr_count:     40
    .vgpr_spill_count: 0
    .wavefront_size: 64
  - .args:
      - .offset:         0
        .size:           40
        .value_kind:     by_value
    .group_segment_fixed_size: 0
    .kernarg_segment_align: 8
    .kernarg_segment_size: 40
    .language:       OpenCL C
    .language_version:
      - 2
      - 0
    .max_flat_workgroup_size: 256
    .name:           _ZN7rocprim17ROCPRIM_400000_NS6detail17trampoline_kernelINS0_14default_configENS1_22reduce_config_selectorIfEEZNS1_11reduce_implILb1ES3_N6thrust23THRUST_200600_302600_NS11hip_rocprim26transform_input_iterator_tIfNS8_17counting_iteratorIiNS8_11use_defaultESC_SC_EE11estimate_piEEPffNS8_4plusIfEEEE10hipError_tPvRmT1_T2_T3_mT4_P12ihipStream_tbEUlT_E1_NS1_11comp_targetILNS1_3genE10ELNS1_11target_archE1201ELNS1_3gpuE5ELNS1_3repE0EEENS1_30default_config_static_selectorELNS0_4arch9wavefront6targetE1EEEvSM_
    .private_segment_fixed_size: 0
    .sgpr_count:     4
    .sgpr_spill_count: 0
    .symbol:         _ZN7rocprim17ROCPRIM_400000_NS6detail17trampoline_kernelINS0_14default_configENS1_22reduce_config_selectorIfEEZNS1_11reduce_implILb1ES3_N6thrust23THRUST_200600_302600_NS11hip_rocprim26transform_input_iterator_tIfNS8_17counting_iteratorIiNS8_11use_defaultESC_SC_EE11estimate_piEEPffNS8_4plusIfEEEE10hipError_tPvRmT1_T2_T3_mT4_P12ihipStream_tbEUlT_E1_NS1_11comp_targetILNS1_3genE10ELNS1_11target_archE1201ELNS1_3gpuE5ELNS1_3repE0EEENS1_30default_config_static_selectorELNS0_4arch9wavefront6targetE1EEEvSM_.kd
    .uniform_work_group_size: 1
    .uses_dynamic_stack: false
    .vgpr_count:     0
    .vgpr_spill_count: 0
    .wavefront_size: 64
  - .args:
      - .offset:         0
        .size:           40
        .value_kind:     by_value
    .group_segment_fixed_size: 0
    .kernarg_segment_align: 8
    .kernarg_segment_size: 40
    .language:       OpenCL C
    .language_version:
      - 2
      - 0
    .max_flat_workgroup_size: 256
    .name:           _ZN7rocprim17ROCPRIM_400000_NS6detail17trampoline_kernelINS0_14default_configENS1_22reduce_config_selectorIfEEZNS1_11reduce_implILb1ES3_N6thrust23THRUST_200600_302600_NS11hip_rocprim26transform_input_iterator_tIfNS8_17counting_iteratorIiNS8_11use_defaultESC_SC_EE11estimate_piEEPffNS8_4plusIfEEEE10hipError_tPvRmT1_T2_T3_mT4_P12ihipStream_tbEUlT_E1_NS1_11comp_targetILNS1_3genE10ELNS1_11target_archE1200ELNS1_3gpuE4ELNS1_3repE0EEENS1_30default_config_static_selectorELNS0_4arch9wavefront6targetE1EEEvSM_
    .private_segment_fixed_size: 0
    .sgpr_count:     4
    .sgpr_spill_count: 0
    .symbol:         _ZN7rocprim17ROCPRIM_400000_NS6detail17trampoline_kernelINS0_14default_configENS1_22reduce_config_selectorIfEEZNS1_11reduce_implILb1ES3_N6thrust23THRUST_200600_302600_NS11hip_rocprim26transform_input_iterator_tIfNS8_17counting_iteratorIiNS8_11use_defaultESC_SC_EE11estimate_piEEPffNS8_4plusIfEEEE10hipError_tPvRmT1_T2_T3_mT4_P12ihipStream_tbEUlT_E1_NS1_11comp_targetILNS1_3genE10ELNS1_11target_archE1200ELNS1_3gpuE4ELNS1_3repE0EEENS1_30default_config_static_selectorELNS0_4arch9wavefront6targetE1EEEvSM_.kd
    .uniform_work_group_size: 1
    .uses_dynamic_stack: false
    .vgpr_count:     0
    .vgpr_spill_count: 0
    .wavefront_size: 64
  - .args:
      - .offset:         0
        .size:           40
        .value_kind:     by_value
    .group_segment_fixed_size: 0
    .kernarg_segment_align: 8
    .kernarg_segment_size: 40
    .language:       OpenCL C
    .language_version:
      - 2
      - 0
    .max_flat_workgroup_size: 256
    .name:           _ZN7rocprim17ROCPRIM_400000_NS6detail17trampoline_kernelINS0_14default_configENS1_22reduce_config_selectorIfEEZNS1_11reduce_implILb1ES3_N6thrust23THRUST_200600_302600_NS11hip_rocprim26transform_input_iterator_tIfNS8_17counting_iteratorIiNS8_11use_defaultESC_SC_EE11estimate_piEEPffNS8_4plusIfEEEE10hipError_tPvRmT1_T2_T3_mT4_P12ihipStream_tbEUlT_E1_NS1_11comp_targetILNS1_3genE9ELNS1_11target_archE1100ELNS1_3gpuE3ELNS1_3repE0EEENS1_30default_config_static_selectorELNS0_4arch9wavefront6targetE1EEEvSM_
    .private_segment_fixed_size: 0
    .sgpr_count:     4
    .sgpr_spill_count: 0
    .symbol:         _ZN7rocprim17ROCPRIM_400000_NS6detail17trampoline_kernelINS0_14default_configENS1_22reduce_config_selectorIfEEZNS1_11reduce_implILb1ES3_N6thrust23THRUST_200600_302600_NS11hip_rocprim26transform_input_iterator_tIfNS8_17counting_iteratorIiNS8_11use_defaultESC_SC_EE11estimate_piEEPffNS8_4plusIfEEEE10hipError_tPvRmT1_T2_T3_mT4_P12ihipStream_tbEUlT_E1_NS1_11comp_targetILNS1_3genE9ELNS1_11target_archE1100ELNS1_3gpuE3ELNS1_3repE0EEENS1_30default_config_static_selectorELNS0_4arch9wavefront6targetE1EEEvSM_.kd
    .uniform_work_group_size: 1
    .uses_dynamic_stack: false
    .vgpr_count:     0
    .vgpr_spill_count: 0
    .wavefront_size: 64
  - .args:
      - .offset:         0
        .size:           40
        .value_kind:     by_value
    .group_segment_fixed_size: 0
    .kernarg_segment_align: 8
    .kernarg_segment_size: 40
    .language:       OpenCL C
    .language_version:
      - 2
      - 0
    .max_flat_workgroup_size: 256
    .name:           _ZN7rocprim17ROCPRIM_400000_NS6detail17trampoline_kernelINS0_14default_configENS1_22reduce_config_selectorIfEEZNS1_11reduce_implILb1ES3_N6thrust23THRUST_200600_302600_NS11hip_rocprim26transform_input_iterator_tIfNS8_17counting_iteratorIiNS8_11use_defaultESC_SC_EE11estimate_piEEPffNS8_4plusIfEEEE10hipError_tPvRmT1_T2_T3_mT4_P12ihipStream_tbEUlT_E1_NS1_11comp_targetILNS1_3genE8ELNS1_11target_archE1030ELNS1_3gpuE2ELNS1_3repE0EEENS1_30default_config_static_selectorELNS0_4arch9wavefront6targetE1EEEvSM_
    .private_segment_fixed_size: 0
    .sgpr_count:     4
    .sgpr_spill_count: 0
    .symbol:         _ZN7rocprim17ROCPRIM_400000_NS6detail17trampoline_kernelINS0_14default_configENS1_22reduce_config_selectorIfEEZNS1_11reduce_implILb1ES3_N6thrust23THRUST_200600_302600_NS11hip_rocprim26transform_input_iterator_tIfNS8_17counting_iteratorIiNS8_11use_defaultESC_SC_EE11estimate_piEEPffNS8_4plusIfEEEE10hipError_tPvRmT1_T2_T3_mT4_P12ihipStream_tbEUlT_E1_NS1_11comp_targetILNS1_3genE8ELNS1_11target_archE1030ELNS1_3gpuE2ELNS1_3repE0EEENS1_30default_config_static_selectorELNS0_4arch9wavefront6targetE1EEEvSM_.kd
    .uniform_work_group_size: 1
    .uses_dynamic_stack: false
    .vgpr_count:     0
    .vgpr_spill_count: 0
    .wavefront_size: 64
amdhsa.target:   amdgcn-amd-amdhsa--gfx906
amdhsa.version:
  - 1
  - 2
...

	.end_amdgpu_metadata
